;; amdgpu-corpus repo=ROCm/rocFFT kind=compiled arch=gfx950 opt=O3
	.text
	.amdgcn_target "amdgcn-amd-amdhsa--gfx950"
	.amdhsa_code_object_version 6
	.protected	fft_rtc_back_len1600_factors_10_16_10_wgs_200_tpt_100_halfLds_dp_op_CI_CI_unitstride_sbrr_C2R_dirReg ; -- Begin function fft_rtc_back_len1600_factors_10_16_10_wgs_200_tpt_100_halfLds_dp_op_CI_CI_unitstride_sbrr_C2R_dirReg
	.globl	fft_rtc_back_len1600_factors_10_16_10_wgs_200_tpt_100_halfLds_dp_op_CI_CI_unitstride_sbrr_C2R_dirReg
	.p2align	8
	.type	fft_rtc_back_len1600_factors_10_16_10_wgs_200_tpt_100_halfLds_dp_op_CI_CI_unitstride_sbrr_C2R_dirReg,@function
fft_rtc_back_len1600_factors_10_16_10_wgs_200_tpt_100_halfLds_dp_op_CI_CI_unitstride_sbrr_C2R_dirReg: ; @fft_rtc_back_len1600_factors_10_16_10_wgs_200_tpt_100_halfLds_dp_op_CI_CI_unitstride_sbrr_C2R_dirReg
; %bb.0:
	s_load_dwordx4 s[4:7], s[0:1], 0x58
	s_load_dwordx4 s[8:11], s[0:1], 0x0
	;; [unrolled: 1-line block ×3, first 2 shown]
	v_mul_u32_u24_e32 v1, 0x290, v0
	v_lshrrev_b32_e32 v1, 16, v1
	v_lshl_add_u32 v6, s2, 1, v1
	v_mov_b32_e32 v4, 0
	s_waitcnt lgkmcnt(0)
	v_cmp_lt_u64_e64 s[2:3], s[10:11], 2
	v_mov_b32_e32 v7, v4
	s_and_b64 vcc, exec, s[2:3]
	v_mov_b64_e32 v[2:3], 0
	s_cbranch_vccnz .LBB0_8
; %bb.1:
	s_load_dwordx2 s[2:3], s[0:1], 0x10
	s_add_u32 s16, s14, 8
	s_addc_u32 s17, s15, 0
	s_add_u32 s18, s12, 8
	s_addc_u32 s19, s13, 0
	s_waitcnt lgkmcnt(0)
	s_add_u32 s20, s2, 8
	v_mov_b64_e32 v[2:3], 0
	s_addc_u32 s21, s3, 0
	s_mov_b64 s[22:23], 1
	v_mov_b64_e32 v[80:81], v[2:3]
.LBB0_2:                                ; =>This Inner Loop Header: Depth=1
	s_load_dwordx2 s[24:25], s[20:21], 0x0
                                        ; implicit-def: $vgpr82_vgpr83
	s_waitcnt lgkmcnt(0)
	v_or_b32_e32 v5, s25, v7
	v_cmp_ne_u64_e32 vcc, 0, v[4:5]
	s_and_saveexec_b64 s[2:3], vcc
	s_xor_b64 s[26:27], exec, s[2:3]
	s_cbranch_execz .LBB0_4
; %bb.3:                                ;   in Loop: Header=BB0_2 Depth=1
	v_cvt_f32_u32_e32 v5, s24
	v_cvt_f32_u32_e32 v8, s25
	s_sub_u32 s2, 0, s24
	s_subb_u32 s3, 0, s25
	v_fmac_f32_e32 v5, 0x4f800000, v8
	v_rcp_f32_e32 v5, v5
	s_nop 0
	v_mul_f32_e32 v5, 0x5f7ffffc, v5
	v_mul_f32_e32 v8, 0x2f800000, v5
	v_trunc_f32_e32 v8, v8
	v_fmac_f32_e32 v5, 0xcf800000, v8
	v_cvt_u32_f32_e32 v12, v8
	v_cvt_u32_f32_e32 v5, v5
	v_mul_lo_u32 v8, s2, v12
	v_mul_hi_u32 v10, s2, v5
	v_mul_lo_u32 v9, s3, v5
	v_add_u32_e32 v10, v10, v8
	v_mul_lo_u32 v13, s2, v5
	v_add_u32_e32 v14, v10, v9
	v_mul_hi_u32 v8, v5, v13
	v_mul_hi_u32 v11, v5, v14
	v_mul_lo_u32 v10, v5, v14
	v_mov_b32_e32 v9, v4
	v_lshl_add_u64 v[8:9], v[8:9], 0, v[10:11]
	v_mul_hi_u32 v11, v12, v13
	v_mul_lo_u32 v13, v12, v13
	v_add_co_u32_e32 v8, vcc, v8, v13
	v_mul_hi_u32 v10, v12, v14
	s_nop 0
	v_addc_co_u32_e32 v8, vcc, v9, v11, vcc
	v_mov_b32_e32 v9, v4
	s_nop 0
	v_addc_co_u32_e32 v11, vcc, 0, v10, vcc
	v_mul_lo_u32 v10, v12, v14
	v_lshl_add_u64 v[8:9], v[8:9], 0, v[10:11]
	v_add_co_u32_e32 v5, vcc, v5, v8
	v_mul_lo_u32 v10, s2, v5
	s_nop 0
	v_addc_co_u32_e32 v12, vcc, v12, v9, vcc
	v_mul_lo_u32 v8, s2, v12
	v_mul_hi_u32 v9, s2, v5
	v_add_u32_e32 v8, v9, v8
	v_mul_lo_u32 v9, s3, v5
	v_add_u32_e32 v13, v8, v9
	v_mul_hi_u32 v15, v12, v10
	v_mul_lo_u32 v16, v12, v10
	v_mul_hi_u32 v9, v5, v13
	v_mul_lo_u32 v8, v5, v13
	v_mul_hi_u32 v10, v5, v10
	v_mov_b32_e32 v11, v4
	v_lshl_add_u64 v[8:9], v[10:11], 0, v[8:9]
	v_add_co_u32_e32 v8, vcc, v8, v16
	v_mul_hi_u32 v14, v12, v13
	s_nop 0
	v_addc_co_u32_e32 v8, vcc, v9, v15, vcc
	v_mul_lo_u32 v10, v12, v13
	s_nop 0
	v_addc_co_u32_e32 v11, vcc, 0, v14, vcc
	v_mov_b32_e32 v9, v4
	v_lshl_add_u64 v[8:9], v[8:9], 0, v[10:11]
	v_add_co_u32_e32 v5, vcc, v5, v8
	v_mul_hi_u32 v10, v6, v5
	s_nop 0
	v_addc_co_u32_e32 v12, vcc, v12, v9, vcc
	v_mad_u64_u32 v[8:9], s[2:3], v6, v12, 0
	v_mov_b32_e32 v11, v4
	v_lshl_add_u64 v[8:9], v[10:11], 0, v[8:9]
	v_mad_u64_u32 v[10:11], s[2:3], v7, v12, 0
	v_mad_u64_u32 v[12:13], s[2:3], v7, v5, 0
	v_add_co_u32_e32 v5, vcc, v8, v12
	s_nop 1
	v_addc_co_u32_e32 v8, vcc, v9, v13, vcc
	v_mov_b32_e32 v9, v4
	s_nop 0
	v_addc_co_u32_e32 v11, vcc, 0, v11, vcc
	v_lshl_add_u64 v[8:9], v[8:9], 0, v[10:11]
	v_mul_lo_u32 v5, s25, v8
	v_mul_lo_u32 v12, s24, v9
	v_mad_u64_u32 v[10:11], s[2:3], s24, v8, 0
	v_add3_u32 v5, v11, v12, v5
	v_sub_u32_e32 v11, v7, v5
	v_mov_b32_e32 v12, s25
	v_sub_co_u32_e32 v14, vcc, v6, v10
	s_nop 1
	v_subb_co_u32_e64 v10, s[2:3], v11, v12, vcc
	v_subrev_co_u32_e64 v11, s[2:3], s24, v14
	v_subb_co_u32_e32 v5, vcc, v7, v5, vcc
	s_nop 0
	v_subbrev_co_u32_e64 v10, s[2:3], 0, v10, s[2:3]
	v_cmp_le_u32_e64 s[2:3], s25, v10
	v_cmp_le_u32_e32 vcc, s25, v5
	s_nop 0
	v_cndmask_b32_e64 v12, 0, -1, s[2:3]
	v_cmp_le_u32_e64 s[2:3], s24, v11
	s_nop 1
	v_cndmask_b32_e64 v11, 0, -1, s[2:3]
	v_cmp_eq_u32_e64 s[2:3], s25, v10
	s_nop 1
	v_cndmask_b32_e64 v15, v12, v11, s[2:3]
	v_lshl_add_u64 v[10:11], v[8:9], 0, 2
	v_lshl_add_u64 v[12:13], v[8:9], 0, 1
	v_cmp_ne_u32_e64 s[2:3], 0, v15
	s_nop 1
	v_cndmask_b32_e64 v11, v13, v11, s[2:3]
	v_cndmask_b32_e64 v13, 0, -1, vcc
	v_cmp_le_u32_e32 vcc, s24, v14
	s_nop 1
	v_cndmask_b32_e64 v14, 0, -1, vcc
	v_cmp_eq_u32_e32 vcc, s25, v5
	s_nop 1
	v_cndmask_b32_e32 v5, v13, v14, vcc
	v_cmp_ne_u32_e32 vcc, 0, v5
	v_cndmask_b32_e64 v5, v12, v10, s[2:3]
	s_nop 0
	v_cndmask_b32_e32 v83, v9, v11, vcc
	v_cndmask_b32_e32 v82, v8, v5, vcc
.LBB0_4:                                ;   in Loop: Header=BB0_2 Depth=1
	s_andn2_saveexec_b64 s[2:3], s[26:27]
	s_cbranch_execz .LBB0_6
; %bb.5:                                ;   in Loop: Header=BB0_2 Depth=1
	v_cvt_f32_u32_e32 v5, s24
	s_sub_i32 s26, 0, s24
	v_mov_b32_e32 v83, v4
	v_rcp_iflag_f32_e32 v5, v5
	s_nop 0
	v_mul_f32_e32 v5, 0x4f7ffffe, v5
	v_cvt_u32_f32_e32 v5, v5
	v_mul_lo_u32 v8, s26, v5
	v_mul_hi_u32 v8, v5, v8
	v_add_u32_e32 v5, v5, v8
	v_mul_hi_u32 v5, v6, v5
	v_mul_lo_u32 v8, v5, s24
	v_sub_u32_e32 v8, v6, v8
	v_add_u32_e32 v9, 1, v5
	v_subrev_u32_e32 v10, s24, v8
	v_cmp_le_u32_e32 vcc, s24, v8
	s_nop 1
	v_cndmask_b32_e32 v8, v8, v10, vcc
	v_cndmask_b32_e32 v5, v5, v9, vcc
	v_add_u32_e32 v9, 1, v5
	v_cmp_le_u32_e32 vcc, s24, v8
	s_nop 1
	v_cndmask_b32_e32 v82, v5, v9, vcc
.LBB0_6:                                ;   in Loop: Header=BB0_2 Depth=1
	s_or_b64 exec, exec, s[2:3]
	v_mad_u64_u32 v[8:9], s[2:3], v82, s24, 0
	s_load_dwordx2 s[2:3], s[18:19], 0x0
	v_mul_lo_u32 v5, v83, s24
	v_mul_lo_u32 v10, v82, s25
	s_load_dwordx2 s[24:25], s[16:17], 0x0
	s_add_u32 s22, s22, 1
	v_add3_u32 v5, v9, v10, v5
	v_sub_co_u32_e32 v6, vcc, v6, v8
	s_addc_u32 s23, s23, 0
	s_nop 0
	v_subb_co_u32_e32 v5, vcc, v7, v5, vcc
	s_add_u32 s16, s16, 8
	s_waitcnt lgkmcnt(0)
	v_mul_lo_u32 v7, s2, v5
	v_mul_lo_u32 v8, s3, v6
	v_mad_u64_u32 v[2:3], s[2:3], s2, v6, v[2:3]
	s_addc_u32 s17, s17, 0
	v_add3_u32 v3, v8, v3, v7
	v_mul_lo_u32 v5, s24, v5
	v_mul_lo_u32 v7, s25, v6
	v_mad_u64_u32 v[80:81], s[2:3], s24, v6, v[80:81]
	s_add_u32 s18, s18, 8
	v_add3_u32 v81, v7, v81, v5
	s_addc_u32 s19, s19, 0
	v_mov_b64_e32 v[6:7], s[10:11]
	s_add_u32 s20, s20, 8
	v_cmp_ge_u64_e32 vcc, s[22:23], v[6:7]
	s_addc_u32 s21, s21, 0
	s_cbranch_vccnz .LBB0_9
; %bb.7:                                ;   in Loop: Header=BB0_2 Depth=1
	v_mov_b64_e32 v[6:7], v[82:83]
	s_branch .LBB0_2
.LBB0_8:
	v_mov_b64_e32 v[80:81], v[2:3]
	v_mov_b64_e32 v[82:83], v[6:7]
.LBB0_9:
	s_load_dwordx2 s[2:3], s[0:1], 0x28
	s_lshl_b64 s[16:17], s[10:11], 3
	s_add_u32 s14, s14, s16
	v_and_b32_e32 v1, 1, v1
	s_addc_u32 s15, s15, s17
	v_cmp_eq_u32_e32 vcc, 1, v1
	v_mov_b32_e32 v1, 0x641
	s_waitcnt lgkmcnt(0)
	v_cmp_gt_u64_e64 s[0:1], s[2:3], v[82:83]
	v_cmp_le_u64_e64 s[2:3], s[2:3], v[82:83]
                                        ; implicit-def: $vgpr84
	s_and_saveexec_b64 s[10:11], s[2:3]
	s_xor_b64 s[2:3], exec, s[10:11]
; %bb.10:
	s_mov_b32 s10, 0x28f5c29
	v_mul_hi_u32 v2, v0, s10
	v_mul_u32_u24_e32 v2, 0x64, v2
	v_sub_u32_e32 v84, v0, v2
                                        ; implicit-def: $vgpr0
                                        ; implicit-def: $vgpr2_vgpr3
; %bb.11:
	s_or_saveexec_b64 s[10:11], s[2:3]
	s_load_dwordx2 s[2:3], s[14:15], 0x0
	v_cndmask_b32_e32 v97, 0, v1, vcc
	v_lshlrev_b32_e32 v95, 4, v97
	s_xor_b64 exec, exec, s[10:11]
	s_cbranch_execz .LBB0_15
; %bb.12:
	s_add_u32 s12, s12, s16
	s_addc_u32 s13, s13, s17
	s_load_dwordx2 s[12:13], s[12:13], 0x0
	s_mov_b32 s14, 0x28f5c29
	s_waitcnt lgkmcnt(0)
	v_mul_lo_u32 v1, s13, v82
	v_mul_lo_u32 v6, s12, v83
	v_mad_u64_u32 v[4:5], s[12:13], s12, v82, 0
	v_add3_u32 v5, v5, v6, v1
	v_mul_hi_u32 v1, v0, s14
	v_mul_u32_u24_e32 v1, 0x64, v1
	v_sub_u32_e32 v84, v0, v1
	v_lshl_add_u64 v[0:1], v[4:5], 4, s[4:5]
	v_lshl_add_u64 v[0:1], v[2:3], 4, v[0:1]
	v_lshlrev_b32_e32 v2, 4, v84
	v_mov_b32_e32 v3, 0
	v_lshl_add_u64 v[44:45], v[0:1], 0, v[2:3]
	s_movk_i32 s4, 0x1000
	v_add_co_u32_e32 v46, vcc, s4, v44
	s_movk_i32 s5, 0x2000
	s_nop 0
	v_addc_co_u32_e32 v47, vcc, 0, v45, vcc
	v_add_co_u32_e32 v48, vcc, s5, v44
	s_movk_i32 s12, 0x3000
	s_nop 0
	v_addc_co_u32_e32 v49, vcc, 0, v45, vcc
	;; [unrolled: 4-line block ×3, first 2 shown]
	v_add_co_u32_e32 v70, vcc, s13, v44
	global_load_dwordx4 v[4:7], v[44:45], off
	global_load_dwordx4 v[8:11], v[44:45], off offset:1600
	v_addc_co_u32_e32 v71, vcc, 0, v45, vcc
	v_add_co_u32_e32 v72, vcc, 0x5000, v44
	global_load_dwordx4 v[12:15], v[44:45], off offset:3200
	global_load_dwordx4 v[16:19], v[46:47], off offset:704
	;; [unrolled: 1-line block ×8, first 2 shown]
	v_addc_co_u32_e32 v73, vcc, 0, v45, vcc
	global_load_dwordx4 v[44:47], v[68:69], off offset:3712
	global_load_dwordx4 v[48:51], v[70:71], off offset:1216
	;; [unrolled: 1-line block ×6, first 2 shown]
	s_movk_i32 s4, 0x63
	v_add3_u32 v2, 0, v95, v2
	v_cmp_eq_u32_e32 vcc, s4, v84
	s_waitcnt vmcnt(15)
	ds_write_b128 v2, v[4:7]
	s_waitcnt vmcnt(14)
	ds_write_b128 v2, v[8:11] offset:1600
	s_waitcnt vmcnt(13)
	ds_write_b128 v2, v[12:15] offset:3200
	;; [unrolled: 2-line block ×15, first 2 shown]
	s_and_saveexec_b64 s[4:5], vcc
	s_cbranch_execz .LBB0_14
; %bb.13:
	v_add_co_u32_e32 v0, vcc, 0x6000, v0
	v_mov_b32_e32 v84, 0x63
	s_nop 0
	v_addc_co_u32_e32 v1, vcc, 0, v1, vcc
	global_load_dwordx4 v[4:7], v[0:1], off offset:1024
	s_waitcnt vmcnt(0)
	ds_write_b128 v2, v[4:7] offset:24016
.LBB0_14:
	s_or_b64 exec, exec, s[4:5]
.LBB0_15:
	s_or_b64 exec, exec, s[10:11]
	v_lshl_add_u32 v94, v97, 4, 0
	v_lshlrev_b32_e32 v19, 4, v84
	v_add_u32_e32 v96, v94, v19
	s_waitcnt lgkmcnt(0)
	s_barrier
	v_sub_u32_e32 v18, v94, v19
	ds_read_b64 v[2:3], v96
	ds_read_b64 v[8:9], v18 offset:25600
	s_add_u32 s4, s8, 0x6360
	s_addc_u32 s5, s9, 0
	v_cmp_ne_u32_e32 vcc, 0, v84
                                        ; implicit-def: $vgpr0_vgpr1
	s_waitcnt lgkmcnt(0)
	v_add_f64 v[4:5], v[2:3], v[8:9]
	v_add_f64 v[6:7], v[2:3], -v[8:9]
	s_and_saveexec_b64 s[10:11], vcc
	s_xor_b64 s[10:11], exec, s[10:11]
	s_cbranch_execz .LBB0_17
; %bb.16:
	v_mov_b32_e32 v85, 0
	v_lshl_add_u64 v[0:1], v[84:85], 4, s[4:5]
	global_load_dwordx4 v[10:13], v[0:1], off
	ds_read_b64 v[0:1], v18 offset:25608
	ds_read_b64 v[4:5], v96 offset:8
	v_add_f64 v[14:15], v[2:3], v[8:9]
	v_add_f64 v[8:9], v[2:3], -v[8:9]
	s_waitcnt lgkmcnt(0)
	v_add_f64 v[16:17], v[0:1], v[4:5]
	v_add_f64 v[2:3], v[4:5], -v[0:1]
	s_waitcnt vmcnt(0)
	v_fma_f64 v[6:7], v[16:17], v[12:13], v[2:3]
	v_fma_f64 v[0:1], -v[8:9], v[12:13], v[14:15]
	v_fma_f64 v[2:3], v[16:17], v[12:13], -v[2:3]
	v_fma_f64 v[4:5], v[8:9], v[12:13], v[14:15]
	v_fmac_f64_e32 v[0:1], v[16:17], v[10:11]
	v_fmac_f64_e32 v[2:3], v[8:9], v[10:11]
	v_fma_f64 v[4:5], -v[16:17], v[10:11], v[4:5]
	v_fmac_f64_e32 v[6:7], v[8:9], v[10:11]
	ds_write_b128 v18, v[0:3] offset:25600
	v_mov_b64_e32 v[0:1], v[84:85]
.LBB0_17:
	s_andn2_saveexec_b64 s[10:11], s[10:11]
	s_cbranch_execz .LBB0_19
; %bb.18:
	ds_read_b128 v[0:3], v94 offset:12800
	s_waitcnt lgkmcnt(0)
	v_add_f64 v[0:1], v[0:1], v[0:1]
	v_mul_f64 v[2:3], v[2:3], -2.0
	ds_write_b128 v94, v[0:3] offset:12800
	v_mov_b64_e32 v[0:1], 0
.LBB0_19:
	s_or_b64 exec, exec, s[10:11]
	v_lshl_add_u64 v[16:17], v[0:1], 4, s[4:5]
	global_load_dwordx4 v[0:3], v[16:17], off offset:1600
	global_load_dwordx4 v[12:15], v[16:17], off offset:3200
	s_movk_i32 s4, 0x1000
	v_add_co_u32_e32 v28, vcc, s4, v16
	s_movk_i32 s4, 0x2000
	s_nop 0
	v_addc_co_u32_e32 v29, vcc, 0, v17, vcc
	global_load_dwordx4 v[8:11], v[28:29], off offset:704
	global_load_dwordx4 v[20:23], v[28:29], off offset:2304
	ds_write_b128 v96, v[4:7]
	ds_read_b128 v[4:7], v96 offset:1600
	ds_read_b128 v[24:27], v18 offset:24000
	global_load_dwordx4 v[28:31], v[28:29], off offset:3904
	v_add_co_u32_e32 v16, vcc, s4, v16
	v_add3_u32 v85, 0, v19, v95
	s_waitcnt lgkmcnt(0)
	v_add_f64 v[32:33], v[4:5], v[24:25]
	v_add_f64 v[34:35], v[26:27], v[6:7]
	v_add_f64 v[36:37], v[4:5], -v[24:25]
	v_add_f64 v[6:7], v[6:7], -v[26:27]
	v_addc_co_u32_e32 v17, vcc, 0, v17, vcc
	s_mov_b32 s4, 0x134454ff
	s_mov_b32 s5, 0xbfee6f0e
	;; [unrolled: 1-line block ×16, first 2 shown]
	v_cmp_gt_u32_e32 vcc, 60, v84
	s_waitcnt vmcnt(4)
	v_fma_f64 v[38:39], v[36:37], v[2:3], v[32:33]
	v_fma_f64 v[4:5], v[34:35], v[2:3], v[6:7]
	v_fma_f64 v[24:25], -v[36:37], v[2:3], v[32:33]
	v_fma_f64 v[26:27], v[34:35], v[2:3], -v[6:7]
	v_fma_f64 v[2:3], -v[34:35], v[0:1], v[38:39]
	v_fmac_f64_e32 v[4:5], v[36:37], v[0:1]
	v_fmac_f64_e32 v[24:25], v[34:35], v[0:1]
	;; [unrolled: 1-line block ×3, first 2 shown]
	ds_write_b128 v96, v[2:5] offset:1600
	ds_write_b128 v18, v[24:27] offset:24000
	ds_read_b128 v[0:3], v96 offset:3200
	ds_read_b128 v[4:7], v18 offset:22400
	global_load_dwordx4 v[24:27], v[16:17], off offset:1408
	s_waitcnt lgkmcnt(0)
	v_add_f64 v[32:33], v[0:1], v[4:5]
	v_add_f64 v[34:35], v[6:7], v[2:3]
	v_add_f64 v[36:37], v[0:1], -v[4:5]
	v_add_f64 v[0:1], v[2:3], -v[6:7]
	s_waitcnt vmcnt(4)
	v_fma_f64 v[38:39], v[36:37], v[14:15], v[32:33]
	v_fma_f64 v[2:3], v[34:35], v[14:15], v[0:1]
	v_fma_f64 v[4:5], -v[36:37], v[14:15], v[32:33]
	v_fma_f64 v[6:7], v[34:35], v[14:15], -v[0:1]
	v_fma_f64 v[0:1], -v[34:35], v[12:13], v[38:39]
	v_fmac_f64_e32 v[2:3], v[36:37], v[12:13]
	v_fmac_f64_e32 v[4:5], v[34:35], v[12:13]
	v_fmac_f64_e32 v[6:7], v[36:37], v[12:13]
	ds_write_b128 v96, v[0:3] offset:3200
	ds_write_b128 v18, v[4:7] offset:22400
	ds_read_b128 v[0:3], v96 offset:4800
	ds_read_b128 v[4:7], v18 offset:20800
	global_load_dwordx4 v[12:15], v[16:17], off offset:3008
	s_waitcnt lgkmcnt(0)
	v_add_f64 v[16:17], v[0:1], v[4:5]
	v_add_f64 v[32:33], v[6:7], v[2:3]
	v_add_f64 v[34:35], v[0:1], -v[4:5]
	v_add_f64 v[0:1], v[2:3], -v[6:7]
	s_waitcnt vmcnt(4)
	v_fma_f64 v[36:37], v[34:35], v[10:11], v[16:17]
	v_fma_f64 v[2:3], v[32:33], v[10:11], v[0:1]
	v_fma_f64 v[4:5], -v[34:35], v[10:11], v[16:17]
	v_fma_f64 v[6:7], v[32:33], v[10:11], -v[0:1]
	v_fma_f64 v[0:1], -v[32:33], v[8:9], v[36:37]
	v_fmac_f64_e32 v[2:3], v[34:35], v[8:9]
	v_fmac_f64_e32 v[4:5], v[32:33], v[8:9]
	v_fmac_f64_e32 v[6:7], v[34:35], v[8:9]
	ds_write_b128 v96, v[0:3] offset:4800
	ds_write_b128 v18, v[4:7] offset:20800
	ds_read_b128 v[0:3], v96 offset:6400
	ds_read_b128 v[4:7], v18 offset:19200
	s_waitcnt lgkmcnt(0)
	v_add_f64 v[8:9], v[0:1], v[4:5]
	v_add_f64 v[10:11], v[6:7], v[2:3]
	v_add_f64 v[16:17], v[0:1], -v[4:5]
	v_add_f64 v[0:1], v[2:3], -v[6:7]
	s_waitcnt vmcnt(3)
	v_fma_f64 v[32:33], v[16:17], v[22:23], v[8:9]
	v_fma_f64 v[2:3], v[10:11], v[22:23], v[0:1]
	v_fma_f64 v[4:5], -v[16:17], v[22:23], v[8:9]
	v_fma_f64 v[6:7], v[10:11], v[22:23], -v[0:1]
	v_fma_f64 v[0:1], -v[10:11], v[20:21], v[32:33]
	v_fmac_f64_e32 v[2:3], v[16:17], v[20:21]
	v_fmac_f64_e32 v[4:5], v[10:11], v[20:21]
	v_fmac_f64_e32 v[6:7], v[16:17], v[20:21]
	ds_write_b128 v96, v[0:3] offset:6400
	ds_write_b128 v18, v[4:7] offset:19200
	ds_read_b128 v[0:3], v96 offset:8000
	ds_read_b128 v[4:7], v18 offset:17600
	;; [unrolled: 18-line block ×4, first 2 shown]
	s_waitcnt lgkmcnt(0)
	v_add_f64 v[8:9], v[0:1], v[4:5]
	v_add_f64 v[10:11], v[6:7], v[2:3]
	v_add_f64 v[16:17], v[0:1], -v[4:5]
	v_add_f64 v[0:1], v[2:3], -v[6:7]
	s_waitcnt vmcnt(0)
	v_fma_f64 v[20:21], v[16:17], v[14:15], v[8:9]
	v_fma_f64 v[2:3], v[10:11], v[14:15], v[0:1]
	v_fma_f64 v[4:5], -v[16:17], v[14:15], v[8:9]
	v_fma_f64 v[6:7], v[10:11], v[14:15], -v[0:1]
	v_fma_f64 v[0:1], -v[10:11], v[12:13], v[20:21]
	v_fmac_f64_e32 v[2:3], v[16:17], v[12:13]
	v_fmac_f64_e32 v[4:5], v[10:11], v[12:13]
	;; [unrolled: 1-line block ×3, first 2 shown]
	ds_write_b128 v96, v[0:3] offset:11200
	ds_write_b128 v18, v[4:7] offset:14400
	s_waitcnt lgkmcnt(0)
	s_barrier
	s_barrier
	ds_read_b128 v[4:7], v85 offset:2560
	ds_read_b128 v[16:19], v85 offset:4160
	;; [unrolled: 1-line block ×9, first 2 shown]
	s_waitcnt lgkmcnt(6)
	v_add_f64 v[66:67], v[4:5], v[0:1]
	v_add_f64 v[100:101], v[6:7], v[2:3]
	s_waitcnt lgkmcnt(2)
	v_add_f64 v[32:33], v[8:9], v[12:13]
	v_fma_f64 v[64:65], -0.5, v[32:33], v[4:5]
	ds_read_b128 v[32:35], v85 offset:24640
	s_waitcnt lgkmcnt(1)
	v_add_f64 v[36:37], v[0:1], v[56:57]
	v_fmac_f64_e32 v[4:5], -0.5, v[36:37]
	v_add_f64 v[36:37], v[8:9], -v[0:1]
	v_add_f64 v[38:39], v[12:13], -v[56:57]
	v_add_f64 v[98:99], v[36:37], v[38:39]
	v_add_f64 v[36:37], v[10:11], v[14:15]
	v_fma_f64 v[102:103], -0.5, v[36:37], v[6:7]
	v_add_f64 v[36:37], v[2:3], v[58:59]
	v_fmac_f64_e32 v[6:7], -0.5, v[36:37]
	v_add_f64 v[112:113], v[8:9], -v[12:13]
	v_add_f64 v[36:37], v[10:11], -v[2:3]
	;; [unrolled: 1-line block ×4, first 2 shown]
	v_fma_f64 v[114:115], s[4:5], v[112:113], v[6:7]
	v_fmac_f64_e32 v[6:7], s[14:15], v[112:113]
	v_add_f64 v[116:117], v[0:1], -v[56:57]
	ds_read_b128 v[68:71], v85 offset:15360
	ds_read_b128 v[72:75], v96
	ds_read_b128 v[76:79], v85 offset:5120
	ds_read_b128 v[86:89], v85 offset:10240
	;; [unrolled: 1-line block ×3, first 2 shown]
	v_add_f64 v[104:105], v[36:37], v[38:39]
	v_fma_f64 v[108:109], s[14:15], v[106:107], v[4:5]
	v_fmac_f64_e32 v[4:5], s[4:5], v[106:107]
	v_add_f64 v[110:111], v[2:3], -v[58:59]
	v_fmac_f64_e32 v[6:7], s[10:11], v[116:117]
	v_fmac_f64_e32 v[4:5], s[16:17], v[110:111]
	;; [unrolled: 1-line block ×4, first 2 shown]
	v_mul_f64 v[118:119], v[6:7], s[4:5]
	v_mul_f64 v[6:7], v[6:7], s[18:19]
	v_fmac_f64_e32 v[118:119], s[18:19], v[4:5]
	v_fmac_f64_e32 v[6:7], s[14:15], v[4:5]
	s_waitcnt lgkmcnt(1)
	v_add_f64 v[4:5], v[86:87], v[68:69]
	v_fma_f64 v[120:121], -0.5, v[4:5], v[72:73]
	s_waitcnt lgkmcnt(0)
	v_add_f64 v[4:5], v[76:77], v[90:91]
	v_add_f64 v[122:123], v[72:73], v[76:77]
	v_fmac_f64_e32 v[72:73], -0.5, v[4:5]
	v_add_f64 v[4:5], v[86:87], -v[76:77]
	v_add_f64 v[60:61], v[68:69], -v[90:91]
	v_add_f64 v[124:125], v[4:5], v[60:61]
	v_add_f64 v[4:5], v[88:89], v[70:71]
	v_fma_f64 v[126:127], -0.5, v[4:5], v[74:75]
	v_add_f64 v[4:5], v[78:79], v[92:93]
	v_add_f64 v[128:129], v[74:75], v[78:79]
	v_fmac_f64_e32 v[74:75], -0.5, v[4:5]
	v_add_f64 v[138:139], v[86:87], -v[68:69]
	v_add_f64 v[4:5], v[88:89], -v[78:79]
	;; [unrolled: 1-line block ×4, first 2 shown]
	v_fma_f64 v[140:141], s[4:5], v[138:139], v[74:75]
	v_fmac_f64_e32 v[74:75], s[14:15], v[138:139]
	v_add_f64 v[142:143], v[76:77], -v[90:91]
	v_add_f64 v[130:131], v[4:5], v[60:61]
	v_fma_f64 v[134:135], s[14:15], v[132:133], v[72:73]
	v_fmac_f64_e32 v[72:73], s[4:5], v[132:133]
	v_add_f64 v[136:137], v[78:79], -v[92:93]
	v_fmac_f64_e32 v[74:75], s[10:11], v[142:143]
	v_fmac_f64_e32 v[72:73], s[16:17], v[136:137]
	;; [unrolled: 1-line block ×4, first 2 shown]
	v_add_f64 v[62:63], v[74:75], v[6:7]
	v_add_f64 v[6:7], v[74:75], -v[6:7]
	v_add_f64 v[74:75], v[78:79], -v[88:89]
	v_add_f64 v[78:79], v[128:129], v[88:89]
	v_add_f64 v[88:89], v[2:3], -v[10:11]
	v_add_f64 v[2:3], v[100:101], v[10:11]
	v_add_f64 v[60:61], v[72:73], v[118:119]
	v_add_f64 v[4:5], v[72:73], -v[118:119]
	v_add_f64 v[72:73], v[76:77], -v[86:87]
	v_add_f64 v[76:77], v[122:123], v[86:87]
	v_add_f64 v[78:79], v[78:79], v[70:71]
	v_add_f64 v[86:87], v[0:1], -v[8:9]
	v_add_f64 v[0:1], v[66:67], v[8:9]
	v_add_f64 v[2:3], v[2:3], v[14:15]
	;; [unrolled: 1-line block ×4, first 2 shown]
	v_add_f64 v[12:13], v[56:57], -v[12:13]
	v_add_f64 v[14:15], v[58:59], -v[14:15]
	v_add_f64 v[2:3], v[2:3], v[58:59]
	v_add_f64 v[10:11], v[78:79], v[2:3]
	v_add_f64 v[2:3], v[78:79], -v[2:3]
	v_add_f64 v[78:79], v[86:87], v[12:13]
	v_add_f64 v[86:87], v[88:89], v[14:15]
	v_fma_f64 v[14:15], s[14:15], v[116:117], v[102:103]
	v_fmac_f64_e32 v[102:103], s[4:5], v[116:117]
	v_fma_f64 v[12:13], s[4:5], v[110:111], v[64:65]
	v_fmac_f64_e32 v[64:65], s[14:15], v[110:111]
	v_fmac_f64_e32 v[102:103], s[10:11], v[112:113]
	ds_read_b128 v[36:39], v85 offset:11840
	ds_read_b128 v[40:43], v85 offset:16960
	v_add_f64 v[76:77], v[76:77], v[68:69]
	v_fmac_f64_e32 v[12:13], s[10:11], v[106:107]
	v_fmac_f64_e32 v[64:65], s[16:17], v[106:107]
	;; [unrolled: 1-line block ×3, first 2 shown]
	ds_read_b128 v[44:47], v85 offset:1600
	ds_read_b128 v[48:51], v85 offset:6720
	;; [unrolled: 1-line block ×3, first 2 shown]
	v_add_f64 v[68:69], v[90:91], -v[68:69]
	v_add_f64 v[76:77], v[76:77], v[90:91]
	v_add_f64 v[0:1], v[0:1], v[56:57]
	v_fmac_f64_e32 v[12:13], s[12:13], v[78:79]
	v_fmac_f64_e32 v[14:15], s[16:17], v[112:113]
	;; [unrolled: 1-line block ×4, first 2 shown]
	v_mul_f64 v[78:79], v[102:103], s[10:11]
	v_mul_f64 v[88:89], v[102:103], s[22:23]
	v_add_f64 v[70:71], v[92:93], -v[70:71]
	v_add_f64 v[8:9], v[76:77], v[0:1]
	v_add_f64 v[0:1], v[76:77], -v[0:1]
	v_add_f64 v[76:77], v[72:73], v[68:69]
	v_fmac_f64_e32 v[14:15], s[12:13], v[86:87]
	v_fma_f64 v[66:67], s[4:5], v[136:137], v[120:121]
	v_fma_f64 v[68:69], s[14:15], v[142:143], v[126:127]
	v_fmac_f64_e32 v[108:109], s[10:11], v[110:111]
	v_fmac_f64_e32 v[114:115], s[12:13], v[104:105]
	;; [unrolled: 1-line block ×6, first 2 shown]
	v_mul_u32_u24_e32 v64, 10, v84
	v_add_f64 v[74:75], v[74:75], v[70:71]
	v_mul_f64 v[56:57], v[14:15], s[10:11]
	v_mul_f64 v[58:59], v[12:13], s[16:17]
	v_fmac_f64_e32 v[66:67], s[10:11], v[132:133]
	v_fmac_f64_e32 v[68:69], s[16:17], v[138:139]
	;; [unrolled: 1-line block ×5, first 2 shown]
	v_mul_f64 v[70:71], v[114:115], s[4:5]
	v_mul_f64 v[72:73], v[114:115], s[12:13]
	v_fmac_f64_e32 v[120:121], s[16:17], v[132:133]
	v_fmac_f64_e32 v[126:127], s[10:11], v[138:139]
	v_lshl_add_u32 v98, v64, 4, 0
	v_fmac_f64_e32 v[56:57], s[20:21], v[12:13]
	v_fmac_f64_e32 v[58:59], s[20:21], v[14:15]
	;; [unrolled: 1-line block ×10, first 2 shown]
	v_add_u32_e32 v64, v98, v95
	v_add_f64 v[12:13], v[66:67], v[56:57]
	v_add_f64 v[14:15], v[68:69], v[58:59]
	v_add_f64 v[56:57], v[66:67], -v[56:57]
	v_add_f64 v[58:59], v[68:69], -v[58:59]
	v_add_f64 v[66:67], v[134:135], v[70:71]
	v_add_f64 v[68:69], v[140:141], v[72:73]
	v_add_f64 v[70:71], v[134:135], -v[70:71]
	v_add_f64 v[72:73], v[140:141], -v[72:73]
	v_add_f64 v[74:75], v[120:121], v[78:79]
	v_add_f64 v[76:77], v[126:127], v[88:89]
	s_waitcnt lgkmcnt(0)
	s_barrier
	ds_write_b128 v64, v[8:11]
	ds_write_b128 v64, v[12:15] offset:16
	ds_write_b128 v64, v[66:69] offset:32
	;; [unrolled: 1-line block ×7, first 2 shown]
	v_add_f64 v[0:1], v[36:37], v[40:41]
	v_fma_f64 v[56:57], -0.5, v[0:1], v[44:45]
	v_add_f64 v[0:1], v[50:51], -v[54:55]
	ds_write_b128 v64, v[4:7] offset:128
	v_add_f64 v[2:3], v[48:49], -v[36:37]
	v_add_f64 v[4:5], v[52:53], -v[40:41]
	v_add_f64 v[2:3], v[2:3], v[4:5]
	v_fma_f64 v[58:59], s[4:5], v[0:1], v[56:57]
	v_add_f64 v[4:5], v[38:39], -v[42:43]
	v_fmac_f64_e32 v[56:57], s[14:15], v[0:1]
	v_fmac_f64_e32 v[58:59], s[10:11], v[4:5]
	;; [unrolled: 1-line block ×5, first 2 shown]
	v_add_f64 v[2:3], v[36:37], -v[48:49]
	v_add_f64 v[6:7], v[40:41], -v[52:53]
	v_add_f64 v[2:3], v[2:3], v[6:7]
	v_add_f64 v[6:7], v[48:49], v[52:53]
	v_fma_f64 v[62:63], -0.5, v[6:7], v[44:45]
	v_fma_f64 v[60:61], s[14:15], v[4:5], v[62:63]
	v_fmac_f64_e32 v[62:63], s[4:5], v[4:5]
	v_fmac_f64_e32 v[60:61], s[10:11], v[0:1]
	;; [unrolled: 1-line block ×3, first 2 shown]
	v_add_f64 v[0:1], v[38:39], v[42:43]
	v_fmac_f64_e32 v[60:61], s[12:13], v[2:3]
	v_fmac_f64_e32 v[62:63], s[12:13], v[2:3]
	v_fma_f64 v[66:67], -0.5, v[0:1], v[46:47]
	v_add_f64 v[0:1], v[50:51], -v[38:39]
	v_add_f64 v[2:3], v[54:55], -v[42:43]
	v_add_f64 v[86:87], v[120:121], -v[78:79]
	v_add_f64 v[88:89], v[126:127], -v[88:89]
	v_add_f64 v[0:1], v[0:1], v[2:3]
	v_add_f64 v[2:3], v[48:49], -v[52:53]
	ds_write_b128 v64, v[86:89] offset:144
	v_fma_f64 v[64:65], s[14:15], v[2:3], v[66:67]
	v_add_f64 v[4:5], v[36:37], -v[40:41]
	v_fmac_f64_e32 v[66:67], s[4:5], v[2:3]
	v_fmac_f64_e32 v[64:65], s[16:17], v[4:5]
	;; [unrolled: 1-line block ×5, first 2 shown]
	v_add_f64 v[0:1], v[38:39], -v[50:51]
	v_add_f64 v[6:7], v[42:43], -v[54:55]
	v_add_f64 v[0:1], v[0:1], v[6:7]
	v_add_f64 v[6:7], v[50:51], v[54:55]
	v_fma_f64 v[70:71], -0.5, v[6:7], v[46:47]
	v_fma_f64 v[68:69], s[4:5], v[4:5], v[70:71]
	v_fmac_f64_e32 v[70:71], s[14:15], v[4:5]
	v_fmac_f64_e32 v[68:69], s[16:17], v[2:3]
	v_fmac_f64_e32 v[70:71], s[10:11], v[2:3]
	v_fmac_f64_e32 v[68:69], s[12:13], v[0:1]
	v_fmac_f64_e32 v[70:71], s[12:13], v[0:1]
	v_add_f64 v[0:1], v[20:21], -v[24:25]
	v_add_f64 v[2:3], v[32:33], -v[28:29]
	v_add_f64 v[0:1], v[0:1], v[2:3]
	v_add_f64 v[2:3], v[24:25], v[28:29]
	v_fma_f64 v[2:3], -0.5, v[2:3], v[16:17]
	v_add_f64 v[4:5], v[22:23], -v[34:35]
	v_fma_f64 v[6:7], s[4:5], v[4:5], v[2:3]
	v_add_f64 v[8:9], v[26:27], -v[30:31]
	v_fmac_f64_e32 v[2:3], s[14:15], v[4:5]
	v_fmac_f64_e32 v[6:7], s[10:11], v[8:9]
	v_fmac_f64_e32 v[2:3], s[16:17], v[8:9]
	v_fmac_f64_e32 v[6:7], s[12:13], v[0:1]
	v_fmac_f64_e32 v[2:3], s[12:13], v[0:1]
	v_add_f64 v[0:1], v[24:25], -v[20:21]
	v_add_f64 v[10:11], v[28:29], -v[32:33]
	v_add_f64 v[0:1], v[0:1], v[10:11]
	v_add_f64 v[10:11], v[20:21], v[32:33]
	v_fma_f64 v[10:11], -0.5, v[10:11], v[16:17]
	v_fma_f64 v[12:13], s[14:15], v[8:9], v[10:11]
	v_fmac_f64_e32 v[10:11], s[4:5], v[8:9]
	v_fmac_f64_e32 v[12:13], s[10:11], v[4:5]
	;; [unrolled: 1-line block ×5, first 2 shown]
	v_add_f64 v[0:1], v[22:23], -v[26:27]
	v_add_f64 v[4:5], v[34:35], -v[30:31]
	v_add_f64 v[0:1], v[0:1], v[4:5]
	v_add_f64 v[4:5], v[26:27], v[30:31]
	v_fma_f64 v[4:5], -0.5, v[4:5], v[18:19]
	v_add_f64 v[8:9], v[20:21], -v[32:33]
	v_fma_f64 v[14:15], s[14:15], v[8:9], v[4:5]
	v_add_f64 v[72:73], v[24:25], -v[28:29]
	v_fmac_f64_e32 v[4:5], s[4:5], v[8:9]
	v_fmac_f64_e32 v[14:15], s[16:17], v[72:73]
	;; [unrolled: 1-line block ×5, first 2 shown]
	v_add_f64 v[0:1], v[26:27], -v[22:23]
	v_add_f64 v[74:75], v[30:31], -v[34:35]
	v_add_f64 v[0:1], v[0:1], v[74:75]
	v_add_f64 v[74:75], v[22:23], v[34:35]
	v_fma_f64 v[86:87], -0.5, v[74:75], v[18:19]
	v_fma_f64 v[76:77], s[4:5], v[72:73], v[86:87]
	v_fmac_f64_e32 v[86:87], s[14:15], v[72:73]
	v_fmac_f64_e32 v[76:77], s[16:17], v[8:9]
	;; [unrolled: 1-line block ×5, first 2 shown]
	v_mul_f64 v[72:73], v[14:15], s[10:11]
	v_mul_f64 v[78:79], v[6:7], s[16:17]
	;; [unrolled: 1-line block ×8, first 2 shown]
	v_fmac_f64_e32 v[72:73], s[20:21], v[6:7]
	v_fmac_f64_e32 v[78:79], s[20:21], v[14:15]
	v_fmac_f64_e32 v[74:75], s[12:13], v[12:13]
	v_fmac_f64_e32 v[88:89], s[14:15], v[12:13]
	v_fmac_f64_e32 v[76:77], s[18:19], v[10:11]
	v_fmac_f64_e32 v[90:91], s[14:15], v[10:11]
	v_fmac_f64_e32 v[86:87], s[22:23], v[2:3]
	v_fmac_f64_e32 v[92:93], s[16:17], v[2:3]
	v_add_f64 v[0:1], v[58:59], -v[72:73]
	v_add_f64 v[2:3], v[64:65], -v[78:79]
	;; [unrolled: 1-line block ×8, first 2 shown]
	s_and_saveexec_b64 s[4:5], vcc
	s_cbranch_execz .LBB0_21
; %bb.20:
	v_add_f64 v[46:47], v[46:47], v[50:51]
	v_add_f64 v[18:19], v[18:19], v[22:23]
	v_add_f64 v[22:23], v[44:45], v[48:49]
	v_add_f64 v[16:17], v[16:17], v[20:21]
	v_add_f64 v[38:39], v[46:47], v[38:39]
	v_add_f64 v[18:19], v[18:19], v[26:27]
	v_add_f64 v[22:23], v[22:23], v[36:37]
	v_add_f64 v[16:17], v[16:17], v[24:25]
	v_add_f64 v[38:39], v[38:39], v[42:43]
	v_add_f64 v[18:19], v[18:19], v[30:31]
	v_add_f64 v[22:23], v[22:23], v[40:41]
	v_add_f64 v[16:17], v[16:17], v[28:29]
	v_add_f64 v[38:39], v[38:39], v[54:55]
	v_add_f64 v[42:43], v[18:19], v[34:35]
	v_add_f64 v[36:37], v[22:23], v[52:53]
	v_add_f64 v[40:41], v[16:17], v[32:33]
	v_add_f64 v[18:19], v[38:39], -v[42:43]
	v_add_f64 v[16:17], v[36:37], -v[40:41]
	v_add_f64 v[38:39], v[38:39], v[42:43]
	v_add_f64 v[36:37], v[36:37], v[40:41]
	v_lshl_add_u32 v40, v97, 4, v98
	v_add_f64 v[22:23], v[66:67], v[92:93]
	v_add_f64 v[26:27], v[70:71], v[90:91]
	;; [unrolled: 1-line block ×8, first 2 shown]
	ds_write_b128 v40, v[36:39] offset:16000
	ds_write_b128 v40, v[32:35] offset:16016
	;; [unrolled: 1-line block ×10, first 2 shown]
.LBB0_21:
	s_or_b64 exec, exec, s[4:5]
	s_movk_i32 s4, 0xcd
	v_mul_lo_u16_sdwa v64, v84, s4 dst_sel:DWORD dst_unused:UNUSED_PAD src0_sel:BYTE_0 src1_sel:DWORD
	v_lshrrev_b16_e32 v88, 11, v64
	v_mul_lo_u16_e32 v64, 10, v88
	v_sub_u16_e32 v89, v84, v64
	v_mov_b32_e32 v64, 15
	v_mul_u32_u24_sdwa v64, v89, v64 dst_sel:DWORD dst_unused:UNUSED_PAD src0_sel:BYTE_0 src1_sel:DWORD
	v_lshlrev_b32_e32 v97, 4, v64
	s_waitcnt lgkmcnt(0)
	s_barrier
	ds_read_b128 v[16:19], v96
	ds_read_b128 v[66:69], v85 offset:1600
	ds_read_b128 v[74:77], v85 offset:3200
	;; [unrolled: 1-line block ×15, first 2 shown]
	global_load_dwordx4 v[102:105], v97, s[8:9] offset:48
	global_load_dwordx4 v[106:109], v97, s[8:9] offset:32
	;; [unrolled: 1-line block ×3, first 2 shown]
	global_load_dwordx4 v[70:73], v97, s[8:9]
	s_mov_b32 s4, 0x667f3bcd
	s_mov_b32 s5, 0xbfe6a09e
	;; [unrolled: 1-line block ×12, first 2 shown]
	s_waitcnt vmcnt(3) lgkmcnt(11)
	v_mul_f64 v[78:79], v[98:99], v[104:105]
	v_fma_f64 v[78:79], v[100:101], v[102:103], -v[78:79]
	s_waitcnt vmcnt(0)
	v_mul_f64 v[64:65], v[68:69], v[72:73]
	v_fmac_f64_e32 v[64:65], v[66:67], v[70:71]
	v_mul_f64 v[66:67], v[66:67], v[72:73]
	v_fma_f64 v[68:69], v[68:69], v[70:71], -v[66:67]
	v_mul_f64 v[72:73], v[76:77], v[112:113]
	v_mul_f64 v[66:67], v[74:75], v[112:113]
	v_fmac_f64_e32 v[72:73], v[74:75], v[110:111]
	v_fma_f64 v[74:75], v[76:77], v[110:111], -v[66:67]
	v_mul_f64 v[66:67], v[92:93], v[108:109]
	v_mul_f64 v[70:71], v[90:91], v[108:109]
	;; [unrolled: 1-line block ×3, first 2 shown]
	v_fmac_f64_e32 v[66:67], v[90:91], v[106:107]
	v_fma_f64 v[70:71], v[92:93], v[106:107], -v[70:71]
	v_fmac_f64_e32 v[76:77], v[98:99], v[102:103]
	global_load_dwordx4 v[90:93], v97, s[8:9] offset:112
	global_load_dwordx4 v[98:101], v97, s[8:9] offset:96
	;; [unrolled: 1-line block ×4, first 2 shown]
	s_waitcnt vmcnt(0) lgkmcnt(10)
	v_mul_f64 v[86:87], v[62:63], v[108:109]
	v_fmac_f64_e32 v[86:87], v[60:61], v[106:107]
	v_mul_f64 v[60:61], v[60:61], v[108:109]
	v_fma_f64 v[60:61], v[62:63], v[106:107], -v[60:61]
	s_waitcnt lgkmcnt(9)
	v_mul_f64 v[62:63], v[58:59], v[104:105]
	v_fmac_f64_e32 v[62:63], v[56:57], v[102:103]
	v_mul_f64 v[56:57], v[56:57], v[104:105]
	v_fma_f64 v[58:59], v[58:59], v[102:103], -v[56:57]
	s_waitcnt lgkmcnt(8)
	;; [unrolled: 5-line block ×3, first 2 shown]
	v_mul_f64 v[54:55], v[50:51], v[92:93]
	v_fmac_f64_e32 v[54:55], v[48:49], v[90:91]
	v_mul_f64 v[48:49], v[48:49], v[92:93]
	v_fma_f64 v[48:49], v[50:51], v[90:91], -v[48:49]
	global_load_dwordx4 v[90:93], v97, s[8:9] offset:176
	global_load_dwordx4 v[98:101], v97, s[8:9] offset:160
	;; [unrolled: 1-line block ×4, first 2 shown]
	s_waitcnt vmcnt(0) lgkmcnt(6)
	v_mul_f64 v[50:51], v[46:47], v[108:109]
	v_fmac_f64_e32 v[50:51], v[44:45], v[106:107]
	v_mul_f64 v[44:45], v[44:45], v[108:109]
	v_fma_f64 v[44:45], v[46:47], v[106:107], -v[44:45]
	s_waitcnt lgkmcnt(5)
	v_mul_f64 v[46:47], v[42:43], v[104:105]
	v_fmac_f64_e32 v[46:47], v[40:41], v[102:103]
	v_mul_f64 v[40:41], v[40:41], v[104:105]
	v_fma_f64 v[42:43], v[42:43], v[102:103], -v[40:41]
	s_waitcnt lgkmcnt(4)
	;; [unrolled: 5-line block ×3, first 2 shown]
	v_mul_f64 v[38:39], v[34:35], v[92:93]
	v_fmac_f64_e32 v[38:39], v[32:33], v[90:91]
	v_mul_f64 v[32:33], v[32:33], v[92:93]
	v_fma_f64 v[102:103], v[34:35], v[90:91], -v[32:33]
	global_load_dwordx4 v[32:35], v97, s[8:9] offset:224
	global_load_dwordx4 v[90:93], v97, s[8:9] offset:208
	global_load_dwordx4 v[98:101], v97, s[8:9] offset:192
	v_add_f64 v[46:47], v[72:73], -v[46:47]
	v_add_f64 v[44:45], v[68:69], -v[44:45]
	;; [unrolled: 1-line block ×4, first 2 shown]
	v_fma_f64 v[68:69], v[68:69], 2.0, -v[44:45]
	v_fma_f64 v[70:71], v[70:71], 2.0, -v[36:37]
	v_add_f64 v[50:51], v[64:65], -v[50:51]
	v_add_f64 v[40:41], v[66:67], -v[40:41]
	v_fma_f64 v[74:75], v[74:75], 2.0, -v[42:43]
	v_fma_f64 v[72:73], v[72:73], 2.0, -v[46:47]
	;; [unrolled: 1-line block ×4, first 2 shown]
	s_waitcnt lgkmcnt(0)
	s_barrier
	s_waitcnt vmcnt(0)
	v_mul_f64 v[104:105], v[30:31], v[100:101]
	v_fmac_f64_e32 v[104:105], v[28:29], v[98:99]
	v_mul_f64 v[28:29], v[28:29], v[100:101]
	v_fma_f64 v[28:29], v[30:31], v[98:99], -v[28:29]
	v_mul_f64 v[30:31], v[26:27], v[92:93]
	v_fmac_f64_e32 v[30:31], v[24:25], v[90:91]
	v_mul_f64 v[24:25], v[24:25], v[92:93]
	v_fma_f64 v[24:25], v[26:27], v[90:91], -v[24:25]
	;; [unrolled: 4-line block ×3, first 2 shown]
	v_add_f64 v[22:23], v[16:17], -v[54:55]
	v_add_f64 v[34:35], v[76:77], -v[38:39]
	;; [unrolled: 1-line block ×7, first 2 shown]
	v_fma_f64 v[54:55], v[78:79], 2.0, -v[38:39]
	v_add_f64 v[30:31], v[62:63], -v[30:31]
	v_fma_f64 v[58:59], v[58:59], 2.0, -v[24:25]
	v_fma_f64 v[60:61], v[60:61], 2.0, -v[28:29]
	v_fma_f64 v[52:53], v[52:53], 2.0, -v[20:21]
	v_add_f64 v[38:39], v[22:23], v[38:39]
	v_add_f64 v[24:25], v[46:47], v[24:25]
	v_fma_f64 v[48:49], v[76:77], 2.0, -v[34:35]
	v_fma_f64 v[62:63], v[62:63], 2.0, -v[30:31]
	v_add_f64 v[34:35], v[32:33], -v[34:35]
	v_add_f64 v[30:31], v[42:43], -v[30:31]
	;; [unrolled: 1-line block ×4, first 2 shown]
	v_fma_f64 v[100:101], s[10:11], v[24:25], v[38:39]
	v_fma_f64 v[18:19], v[18:19], 2.0, -v[32:33]
	v_add_f64 v[76:77], v[86:87], -v[104:105]
	v_add_f64 v[26:27], v[56:57], -v[26:27]
	v_fma_f64 v[32:33], v[32:33], 2.0, -v[34:35]
	v_fma_f64 v[42:43], v[42:43], 2.0, -v[30:31]
	;; [unrolled: 1-line block ×3, first 2 shown]
	v_add_f64 v[28:29], v[50:51], v[28:29]
	v_fma_f64 v[70:71], v[70:71], 2.0, -v[52:53]
	v_add_f64 v[20:21], v[40:41], v[20:21]
	v_fma_f64 v[102:103], s[10:11], v[30:31], v[34:35]
	v_fmac_f64_e32 v[100:101], s[10:11], v[30:31]
	v_fma_f64 v[16:17], v[16:17], 2.0, -v[22:23]
	v_fma_f64 v[78:79], v[86:87], 2.0, -v[76:77]
	;; [unrolled: 1-line block ×5, first 2 shown]
	v_add_f64 v[76:77], v[44:45], -v[76:77]
	v_fma_f64 v[50:51], v[50:51], 2.0, -v[28:29]
	v_add_f64 v[26:27], v[36:37], -v[26:27]
	v_fma_f64 v[40:41], v[40:41], 2.0, -v[20:21]
	v_fma_f64 v[90:91], s[4:5], v[42:43], v[32:33]
	v_fmac_f64_e32 v[102:103], s[4:5], v[24:25]
	v_fma_f64 v[24:25], v[38:39], 2.0, -v[100:101]
	v_add_f64 v[38:39], v[68:69], -v[70:71]
	v_add_f64 v[48:49], v[16:17], -v[48:49]
	;; [unrolled: 1-line block ×6, first 2 shown]
	v_fma_f64 v[44:45], v[44:45], 2.0, -v[76:77]
	v_add_f64 v[56:57], v[66:67], -v[56:57]
	v_fma_f64 v[36:37], v[36:37], 2.0, -v[26:27]
	v_fma_f64 v[86:87], s[4:5], v[46:47], v[22:23]
	v_fmac_f64_e32 v[90:91], s[4:5], v[46:47]
	v_fma_f64 v[46:47], v[68:69], 2.0, -v[38:39]
	v_fma_f64 v[68:69], s[4:5], v[40:41], v[50:51]
	v_fma_f64 v[16:17], v[16:17], 2.0, -v[48:49]
	v_fma_f64 v[18:19], v[18:19], 2.0, -v[54:55]
	;; [unrolled: 1-line block ×6, first 2 shown]
	v_fmac_f64_e32 v[86:87], s[10:11], v[42:43]
	v_fma_f64 v[70:71], s[4:5], v[36:37], v[44:45]
	v_fmac_f64_e32 v[68:69], s[10:11], v[36:37]
	v_add_f64 v[104:105], v[78:79], v[52:53]
	v_add_f64 v[72:73], v[16:17], -v[72:73]
	v_add_f64 v[74:75], v[18:19], -v[74:75]
	v_fma_f64 v[22:23], v[22:23], 2.0, -v[86:87]
	v_add_f64 v[92:93], v[48:49], v[58:59]
	v_add_f64 v[98:99], v[54:55], -v[62:63]
	v_fma_f64 v[30:31], v[34:35], 2.0, -v[102:103]
	v_add_f64 v[34:35], v[64:65], -v[66:67]
	v_fmac_f64_e32 v[70:71], s[4:5], v[40:41]
	v_fma_f64 v[36:37], v[50:51], 2.0, -v[68:69]
	v_add_f64 v[106:107], v[60:61], -v[56:57]
	v_fma_f64 v[56:57], v[78:79], 2.0, -v[104:105]
	v_fma_f64 v[78:79], s[10:11], v[20:21], v[28:29]
	v_fma_f64 v[108:109], s[10:11], v[26:27], v[76:77]
	v_fma_f64 v[16:17], v[16:17], 2.0, -v[72:73]
	v_fma_f64 v[18:19], v[18:19], 2.0, -v[74:75]
	v_fma_f64 v[58:59], v[48:49], 2.0, -v[92:93]
	v_fma_f64 v[62:63], v[54:55], 2.0, -v[98:99]
	v_fma_f64 v[42:43], v[64:65], 2.0, -v[34:35]
	v_fma_f64 v[54:55], v[44:45], 2.0, -v[70:71]
	v_fmac_f64_e32 v[78:79], s[10:11], v[26:27]
	v_fmac_f64_e32 v[108:109], s[4:5], v[20:21]
	v_fma_f64 v[48:49], s[14:15], v[36:37], v[22:23]
	v_fma_f64 v[60:61], v[60:61], 2.0, -v[106:107]
	v_fma_f64 v[26:27], v[28:29], 2.0, -v[78:79]
	;; [unrolled: 1-line block ×3, first 2 shown]
	v_add_f64 v[40:41], v[16:17], -v[42:43]
	v_add_f64 v[42:43], v[18:19], -v[46:47]
	v_fmac_f64_e32 v[48:49], s[12:13], v[54:55]
	v_fma_f64 v[44:45], v[16:17], 2.0, -v[40:41]
	v_fma_f64 v[46:47], v[18:19], 2.0, -v[42:43]
	;; [unrolled: 1-line block ×3, first 2 shown]
	v_fma_f64 v[16:17], s[4:5], v[56:57], v[58:59]
	v_fma_f64 v[18:19], s[4:5], v[60:61], v[62:63]
	;; [unrolled: 1-line block ×4, first 2 shown]
	v_fma_f64 v[32:33], v[32:33], 2.0, -v[90:91]
	v_fmac_f64_e32 v[16:17], s[10:11], v[60:61]
	v_fmac_f64_e32 v[18:19], s[4:5], v[56:57]
	;; [unrolled: 1-line block ×4, first 2 shown]
	v_fma_f64 v[28:29], s[12:13], v[68:69], v[86:87]
	v_fma_f64 v[50:51], s[14:15], v[54:55], v[32:33]
	v_fma_f64 v[56:57], v[58:59], 2.0, -v[16:17]
	v_fma_f64 v[58:59], v[62:63], 2.0, -v[18:19]
	;; [unrolled: 1-line block ×3, first 2 shown]
	v_fma_f64 v[30:31], s[12:13], v[70:71], v[90:91]
	v_fmac_f64_e32 v[28:29], s[18:19], v[70:71]
	v_fmac_f64_e32 v[50:51], s[16:17], v[36:37]
	;; [unrolled: 1-line block ×3, first 2 shown]
	v_fma_f64 v[68:69], v[86:87], 2.0, -v[28:29]
	v_mul_u32_u24_e32 v86, 0xa0, v88
	v_fma_f64 v[54:55], v[32:33], 2.0, -v[50:51]
	v_fma_f64 v[60:61], v[24:25], 2.0, -v[20:21]
	v_add_f64 v[24:25], v[72:73], v[38:39]
	v_add_f64 v[26:27], v[74:75], -v[34:35]
	v_fma_f64 v[32:33], s[10:11], v[104:105], v[92:93]
	v_fma_f64 v[34:35], s[10:11], v[106:107], v[98:99]
	;; [unrolled: 1-line block ×4, first 2 shown]
	v_or_b32_sdwa v86, v86, v89 dst_sel:DWORD dst_unused:UNUSED_PAD src0_sel:DWORD src1_sel:BYTE_0
	v_fmac_f64_e32 v[32:33], s[10:11], v[106:107]
	v_fmac_f64_e32 v[34:35], s[4:5], v[104:105]
	;; [unrolled: 1-line block ×4, first 2 shown]
	v_lshlrev_b32_e32 v86, 4, v86
	v_fma_f64 v[64:65], v[72:73], 2.0, -v[24:25]
	v_fma_f64 v[66:67], v[74:75], 2.0, -v[26:27]
	;; [unrolled: 1-line block ×7, first 2 shown]
	v_add3_u32 v86, 0, v86, v95
	ds_write_b128 v86, v[44:47]
	ds_write_b128 v86, v[52:55] offset:160
	ds_write_b128 v86, v[56:59] offset:320
	ds_write_b128 v86, v[60:63] offset:480
	ds_write_b128 v86, v[64:67] offset:640
	ds_write_b128 v86, v[68:71] offset:800
	ds_write_b128 v86, v[72:75] offset:960
	ds_write_b128 v86, v[76:79] offset:1120
	ds_write_b128 v86, v[40:43] offset:1280
	ds_write_b128 v86, v[48:51] offset:1440
	ds_write_b128 v86, v[16:19] offset:1600
	ds_write_b128 v86, v[20:23] offset:1760
	ds_write_b128 v86, v[24:27] offset:1920
	ds_write_b128 v86, v[28:31] offset:2080
	ds_write_b128 v86, v[32:35] offset:2240
	ds_write_b128 v86, v[36:39] offset:2400
	s_waitcnt lgkmcnt(0)
	s_barrier
	ds_read_b128 v[40:43], v96
	ds_read_b128 v[76:79], v85 offset:2560
	ds_read_b128 v[72:75], v85 offset:5120
	;; [unrolled: 1-line block ×9, first 2 shown]
	s_and_saveexec_b64 s[4:5], vcc
	s_cbranch_execz .LBB0_23
; %bb.22:
	ds_read_b128 v[16:19], v85 offset:1600
	ds_read_b128 v[20:23], v85 offset:4160
	;; [unrolled: 1-line block ×10, first 2 shown]
.LBB0_23:
	s_or_b64 exec, exec, s[4:5]
	v_mul_u32_u24_e32 v86, 9, v84
	v_lshlrev_b32_e32 v95, 4, v86
	global_load_dwordx4 v[86:89], v95, s[8:9] offset:2400
	global_load_dwordx4 v[90:93], v95, s[8:9] offset:2416
	;; [unrolled: 1-line block ×9, first 2 shown]
	s_mov_b32 s4, 0x134454ff
	s_mov_b32 s5, 0xbfee6f0e
	;; [unrolled: 1-line block ×16, first 2 shown]
	s_waitcnt lgkmcnt(0)
	s_barrier
	s_waitcnt vmcnt(8)
	v_mul_f64 v[124:125], v[78:79], v[88:89]
	s_waitcnt vmcnt(7)
	v_mul_f64 v[126:127], v[74:75], v[92:93]
	v_fmac_f64_e32 v[126:127], v[72:73], v[90:91]
	s_waitcnt vmcnt(5)
	v_mul_f64 v[130:131], v[66:67], v[102:103]
	v_mul_f64 v[92:93], v[72:73], v[92:93]
	s_waitcnt vmcnt(3)
	v_mul_f64 v[134:135], v[58:59], v[110:111]
	v_fmac_f64_e32 v[130:131], v[64:65], v[100:101]
	s_waitcnt vmcnt(1)
	v_mul_f64 v[138:139], v[50:51], v[118:119]
	s_waitcnt vmcnt(0)
	v_mul_f64 v[140:141], v[46:47], v[122:123]
	v_mul_f64 v[122:123], v[44:45], v[122:123]
	;; [unrolled: 1-line block ×3, first 2 shown]
	v_fmac_f64_e32 v[134:135], v[56:57], v[108:109]
	v_fmac_f64_e32 v[140:141], v[44:45], v[120:121]
	v_fma_f64 v[44:45], v[46:47], v[120:121], -v[122:123]
	v_add_f64 v[46:47], v[40:41], v[126:127]
	v_mul_f64 v[88:89], v[76:77], v[88:89]
	v_mul_f64 v[128:129], v[70:71], v[98:99]
	;; [unrolled: 1-line block ×9, first 2 shown]
	v_fma_f64 v[72:73], v[74:75], v[90:91], -v[92:93]
	v_fmac_f64_e32 v[138:139], v[48:49], v[116:117]
	v_fma_f64 v[48:49], v[50:51], v[116:117], -v[118:119]
	v_add_f64 v[50:51], v[130:131], v[134:135]
	v_add_f64 v[46:47], v[46:47], v[130:131]
	v_fmac_f64_e32 v[124:125], v[76:77], v[86:87]
	v_fma_f64 v[76:77], v[78:79], v[86:87], -v[88:89]
	v_fmac_f64_e32 v[128:129], v[68:69], v[96:97]
	v_fma_f64 v[68:69], v[70:71], v[96:97], -v[98:99]
	v_fma_f64 v[64:65], v[66:67], v[100:101], -v[102:103]
	v_fmac_f64_e32 v[132:133], v[60:61], v[104:105]
	v_fma_f64 v[60:61], v[62:63], v[104:105], -v[106:107]
	v_fma_f64 v[56:57], v[58:59], v[108:109], -v[110:111]
	v_fmac_f64_e32 v[136:137], v[52:53], v[112:113]
	v_fma_f64 v[52:53], v[54:55], v[112:113], -v[114:115]
	v_add_f64 v[54:55], v[72:73], -v[48:49]
	v_add_f64 v[62:63], v[126:127], -v[130:131]
	;; [unrolled: 1-line block ×3, first 2 shown]
	v_add_f64 v[70:71], v[126:127], v[138:139]
	v_add_f64 v[74:75], v[130:131], -v[126:127]
	v_add_f64 v[78:79], v[134:135], -v[138:139]
	v_fma_f64 v[88:89], -0.5, v[50:51], v[40:41]
	v_add_f64 v[46:47], v[46:47], v[134:135]
	v_add_f64 v[58:59], v[64:65], -v[56:57]
	v_add_f64 v[86:87], v[42:43], v[72:73]
	v_add_f64 v[50:51], v[62:63], v[66:67]
	v_fmac_f64_e32 v[40:41], -0.5, v[70:71]
	v_add_f64 v[62:63], v[74:75], v[78:79]
	v_fma_f64 v[70:71], s[4:5], v[54:55], v[88:89]
	v_fmac_f64_e32 v[88:89], s[14:15], v[54:55]
	v_add_f64 v[78:79], v[46:47], v[138:139]
	v_add_f64 v[46:47], v[64:65], v[56:57]
	;; [unrolled: 1-line block ×3, first 2 shown]
	v_fma_f64 v[74:75], s[14:15], v[58:59], v[40:41]
	v_fmac_f64_e32 v[40:41], s[4:5], v[58:59]
	v_fmac_f64_e32 v[70:71], s[10:11], v[58:59]
	;; [unrolled: 1-line block ×3, first 2 shown]
	v_fma_f64 v[86:87], -0.5, v[46:47], v[42:43]
	v_add_f64 v[46:47], v[126:127], -v[138:139]
	v_fmac_f64_e32 v[74:75], s[10:11], v[54:55]
	v_fmac_f64_e32 v[40:41], s[16:17], v[54:55]
	v_fmac_f64_e32 v[70:71], s[12:13], v[50:51]
	v_fmac_f64_e32 v[88:89], s[12:13], v[50:51]
	v_fma_f64 v[90:91], s[14:15], v[46:47], v[86:87]
	v_add_f64 v[50:51], v[130:131], -v[134:135]
	v_add_f64 v[54:55], v[72:73], -v[64:65]
	v_add_f64 v[58:59], v[48:49], -v[56:57]
	v_fmac_f64_e32 v[86:87], s[4:5], v[46:47]
	v_fmac_f64_e32 v[90:91], s[16:17], v[50:51]
	v_add_f64 v[54:55], v[54:55], v[58:59]
	v_fmac_f64_e32 v[86:87], s[10:11], v[50:51]
	v_fmac_f64_e32 v[90:91], s[12:13], v[54:55]
	;; [unrolled: 1-line block ×3, first 2 shown]
	v_add_f64 v[54:55], v[72:73], v[48:49]
	v_fmac_f64_e32 v[42:43], -0.5, v[54:55]
	v_fma_f64 v[92:93], s[4:5], v[50:51], v[42:43]
	v_fmac_f64_e32 v[42:43], s[14:15], v[50:51]
	v_fmac_f64_e32 v[92:93], s[16:17], v[46:47]
	;; [unrolled: 1-line block ×3, first 2 shown]
	v_add_f64 v[46:47], v[124:125], v[128:129]
	v_add_f64 v[46:47], v[46:47], v[132:133]
	;; [unrolled: 1-line block ×5, first 2 shown]
	v_add_f64 v[54:55], v[64:65], -v[72:73]
	v_add_f64 v[48:49], v[56:57], -v[48:49]
	v_add_f64 v[64:65], v[46:47], v[140:141]
	v_add_f64 v[46:47], v[132:133], v[136:137]
	v_fmac_f64_e32 v[74:75], s[12:13], v[62:63]
	v_fmac_f64_e32 v[40:41], s[12:13], v[62:63]
	v_add_f64 v[48:49], v[54:55], v[48:49]
	v_fma_f64 v[62:63], -0.5, v[46:47], v[124:125]
	v_add_f64 v[46:47], v[68:69], -v[44:45]
	v_fmac_f64_e32 v[92:93], s[12:13], v[48:49]
	v_fmac_f64_e32 v[42:43], s[12:13], v[48:49]
	v_fma_f64 v[50:51], s[4:5], v[46:47], v[62:63]
	v_add_f64 v[48:49], v[60:61], -v[52:53]
	v_add_f64 v[54:55], v[128:129], -v[132:133]
	;; [unrolled: 1-line block ×3, first 2 shown]
	v_fmac_f64_e32 v[62:63], s[14:15], v[46:47]
	v_fmac_f64_e32 v[50:51], s[10:11], v[48:49]
	v_add_f64 v[54:55], v[54:55], v[56:57]
	v_fmac_f64_e32 v[62:63], s[16:17], v[48:49]
	v_fmac_f64_e32 v[50:51], s[12:13], v[54:55]
	;; [unrolled: 1-line block ×3, first 2 shown]
	v_add_f64 v[54:55], v[128:129], v[140:141]
	v_fmac_f64_e32 v[124:125], -0.5, v[54:55]
	v_fma_f64 v[54:55], s[14:15], v[48:49], v[124:125]
	v_fmac_f64_e32 v[124:125], s[4:5], v[48:49]
	v_fmac_f64_e32 v[54:55], s[10:11], v[46:47]
	;; [unrolled: 1-line block ×3, first 2 shown]
	v_add_f64 v[46:47], v[76:77], v[68:69]
	v_add_f64 v[46:47], v[46:47], v[60:61]
	;; [unrolled: 1-line block ×3, first 2 shown]
	v_add_f64 v[56:57], v[132:133], -v[128:129]
	v_add_f64 v[58:59], v[136:137], -v[140:141]
	v_add_f64 v[96:97], v[46:47], v[44:45]
	v_add_f64 v[46:47], v[60:61], v[52:53]
	;; [unrolled: 1-line block ×3, first 2 shown]
	v_fma_f64 v[72:73], -0.5, v[46:47], v[76:77]
	v_add_f64 v[46:47], v[128:129], -v[140:141]
	v_fmac_f64_e32 v[54:55], s[12:13], v[56:57]
	v_fmac_f64_e32 v[124:125], s[12:13], v[56:57]
	v_fma_f64 v[58:59], s[14:15], v[46:47], v[72:73]
	v_add_f64 v[48:49], v[132:133], -v[136:137]
	v_add_f64 v[56:57], v[68:69], -v[60:61]
	;; [unrolled: 1-line block ×3, first 2 shown]
	v_fmac_f64_e32 v[72:73], s[4:5], v[46:47]
	v_fmac_f64_e32 v[58:59], s[16:17], v[48:49]
	v_add_f64 v[56:57], v[56:57], v[98:99]
	v_fmac_f64_e32 v[72:73], s[10:11], v[48:49]
	v_fmac_f64_e32 v[58:59], s[12:13], v[56:57]
	;; [unrolled: 1-line block ×3, first 2 shown]
	v_add_f64 v[56:57], v[68:69], v[44:45]
	v_fmac_f64_e32 v[76:77], -0.5, v[56:57]
	v_fma_f64 v[98:99], s[4:5], v[48:49], v[76:77]
	v_add_f64 v[56:57], v[60:61], -v[68:69]
	v_add_f64 v[44:45], v[52:53], -v[44:45]
	v_fmac_f64_e32 v[76:77], s[14:15], v[48:49]
	v_fmac_f64_e32 v[98:99], s[16:17], v[46:47]
	v_add_f64 v[44:45], v[56:57], v[44:45]
	v_fmac_f64_e32 v[76:77], s[10:11], v[46:47]
	v_fmac_f64_e32 v[98:99], s[12:13], v[44:45]
	v_fmac_f64_e32 v[76:77], s[12:13], v[44:45]
	v_mul_f64 v[68:69], v[58:59], s[10:11]
	v_mul_f64 v[100:101], v[98:99], s[4:5]
	;; [unrolled: 1-line block ×8, first 2 shown]
	v_add_f64 v[44:45], v[78:79], v[64:65]
	v_fmac_f64_e32 v[68:69], s[18:19], v[50:51]
	v_fmac_f64_e32 v[100:101], s[12:13], v[54:55]
	;; [unrolled: 1-line block ×4, first 2 shown]
	v_add_f64 v[46:47], v[66:67], v[96:97]
	v_fmac_f64_e32 v[106:107], s[16:17], v[50:51]
	v_fmac_f64_e32 v[98:99], s[14:15], v[54:55]
	;; [unrolled: 1-line block ×4, first 2 shown]
	v_add_f64 v[48:49], v[70:71], v[68:69]
	v_add_f64 v[52:53], v[74:75], v[100:101]
	;; [unrolled: 1-line block ×8, first 2 shown]
	v_add_f64 v[64:65], v[78:79], -v[64:65]
	v_add_f64 v[68:69], v[70:71], -v[68:69]
	;; [unrolled: 1-line block ×10, first 2 shown]
	ds_write_b128 v85, v[44:47]
	ds_write_b128 v85, v[48:51] offset:2560
	ds_write_b128 v85, v[52:55] offset:5120
	;; [unrolled: 1-line block ×9, first 2 shown]
	s_and_saveexec_b64 s[22:23], vcc
	s_cbranch_execz .LBB0_25
; %bb.24:
	v_add_u32_e32 v40, 0x64, v84
	v_subrev_u32_e32 v41, 60, v84
	v_cndmask_b32_e32 v40, v41, v40, vcc
	v_mul_i32_i24_e32 v40, 9, v40
	v_mov_b32_e32 v41, 0
	v_lshl_add_u64 v[40:41], v[40:41], 4, s[8:9]
	global_load_dwordx4 v[54:57], v[40:41], off offset:2416
	global_load_dwordx4 v[58:61], v[40:41], off offset:2448
	;; [unrolled: 1-line block ×9, first 2 shown]
	s_waitcnt vmcnt(8)
	v_mul_f64 v[78:79], v[24:25], v[56:57]
	s_waitcnt vmcnt(7)
	v_mul_f64 v[100:101], v[32:33], v[60:61]
	s_waitcnt vmcnt(6)
	v_mul_f64 v[102:103], v[8:9], v[64:65]
	s_waitcnt vmcnt(5)
	v_mul_f64 v[104:105], v[0:1], v[68:69]
	v_mul_f64 v[40:41], v[26:27], v[56:57]
	v_mul_f64 v[42:43], v[10:11], v[64:65]
	;; [unrolled: 1-line block ×3, first 2 shown]
	s_waitcnt vmcnt(4)
	v_mul_f64 v[48:49], v[30:31], v[72:73]
	s_waitcnt vmcnt(3)
	v_mul_f64 v[50:51], v[38:39], v[76:77]
	;; [unrolled: 2-line block ×4, first 2 shown]
	v_mul_f64 v[64:65], v[4:5], v[92:93]
	v_fma_f64 v[26:27], v[26:27], v[54:55], -v[78:79]
	v_fma_f64 v[34:35], v[34:35], v[58:59], -v[100:101]
	;; [unrolled: 1-line block ×4, first 2 shown]
	v_mul_f64 v[46:47], v[2:3], v[68:69]
	v_mul_f64 v[60:61], v[36:37], v[76:77]
	s_waitcnt vmcnt(0)
	v_mul_f64 v[68:69], v[22:23], v[98:99]
	v_mul_f64 v[72:73], v[28:29], v[72:73]
	;; [unrolled: 1-line block ×3, first 2 shown]
	v_fmac_f64_e32 v[48:49], v[28:29], v[70:71]
	v_fmac_f64_e32 v[50:51], v[36:37], v[74:75]
	;; [unrolled: 1-line block ×4, first 2 shown]
	v_fma_f64 v[4:5], v[6:7], v[90:91], -v[64:65]
	v_add_f64 v[2:3], v[26:27], -v[34:35]
	v_add_f64 v[6:7], v[78:79], -v[92:93]
	v_mul_f64 v[88:89], v[20:21], v[98:99]
	v_fmac_f64_e32 v[42:43], v[8:9], v[62:63]
	v_fmac_f64_e32 v[46:47], v[0:1], v[66:67]
	v_fma_f64 v[0:1], v[38:39], v[74:75], -v[60:61]
	v_fmac_f64_e32 v[68:69], v[20:21], v[96:97]
	v_fma_f64 v[8:9], v[30:31], v[70:71], -v[72:73]
	v_fma_f64 v[12:13], v[14:15], v[86:87], -v[76:77]
	v_add_f64 v[72:73], v[50:51], -v[48:49]
	v_add_f64 v[74:75], v[56:57], -v[52:53]
	v_add_f64 v[76:77], v[2:3], v[6:7]
	v_add_f64 v[6:7], v[48:49], v[52:53]
	v_fma_f64 v[20:21], v[22:23], v[96:97], -v[88:89]
	v_add_f64 v[72:73], v[72:73], v[74:75]
	v_fma_f64 v[74:75], -0.5, v[6:7], v[68:69]
	v_add_f64 v[6:7], v[0:1], -v[8:9]
	v_add_f64 v[96:97], v[4:5], -v[12:13]
	v_fmac_f64_e32 v[40:41], v[24:25], v[54:55]
	v_fmac_f64_e32 v[44:45], v[32:33], v[58:59]
	v_add_f64 v[24:25], v[48:49], -v[50:51]
	v_add_f64 v[28:29], v[52:53], -v[56:57]
	v_add_f64 v[32:33], v[50:51], v[56:57]
	v_add_f64 v[36:37], v[8:9], -v[12:13]
	v_add_f64 v[38:39], v[8:9], -v[0:1]
	;; [unrolled: 1-line block ×3, first 2 shown]
	v_add_f64 v[58:59], v[0:1], v[4:5]
	v_add_f64 v[96:97], v[6:7], v[96:97]
	;; [unrolled: 1-line block ×5, first 2 shown]
	v_add_f64 v[30:31], v[0:1], -v[4:5]
	v_add_f64 v[60:61], v[48:49], -v[52:53]
	;; [unrolled: 1-line block ×4, first 2 shown]
	v_add_f64 v[24:25], v[24:25], v[28:29]
	v_fma_f64 v[28:29], -0.5, v[32:33], v[68:69]
	v_add_f64 v[32:33], v[38:39], v[54:55]
	v_fma_f64 v[38:39], -0.5, v[58:59], v[20:21]
	v_add_f64 v[0:1], v[8:9], v[0:1]
	v_add_f64 v[62:63], v[50:51], -v[56:57]
	v_fma_f64 v[86:87], -0.5, v[10:11], v[18:19]
	v_add_f64 v[10:11], v[64:65], v[66:67]
	v_fma_f64 v[66:67], s[4:5], v[60:61], v[38:39]
	v_add_f64 v[0:1], v[0:1], v[4:5]
	v_fma_f64 v[64:65], s[14:15], v[36:37], v[28:29]
	v_fmac_f64_e32 v[66:67], s[10:11], v[62:63]
	v_fma_f64 v[98:99], -0.5, v[6:7], v[20:21]
	v_add_f64 v[20:21], v[0:1], v[12:13]
	v_add_f64 v[0:1], v[40:41], -v[44:45]
	v_add_f64 v[4:5], v[42:43], -v[46:47]
	v_fmac_f64_e32 v[64:65], s[16:17], v[30:31]
	v_fmac_f64_e32 v[66:67], s[12:13], v[32:33]
	;; [unrolled: 1-line block ×3, first 2 shown]
	v_add_f64 v[12:13], v[0:1], v[4:5]
	v_add_f64 v[4:5], v[44:45], -v[40:41]
	v_add_f64 v[8:9], v[46:47], -v[42:43]
	v_fmac_f64_e32 v[64:65], s[12:13], v[24:25]
	v_mul_f64 v[88:89], v[66:67], s[24:25]
	v_fma_f64 v[90:91], s[4:5], v[30:31], v[74:75]
	v_fma_f64 v[100:101], s[14:15], v[62:63], v[98:99]
	v_fmac_f64_e32 v[74:75], s[14:15], v[30:31]
	v_fmac_f64_e32 v[98:99], s[4:5], v[62:63]
	;; [unrolled: 1-line block ×3, first 2 shown]
	v_add_f64 v[0:1], v[44:45], v[46:47]
	v_mul_f64 v[62:63], v[66:67], s[10:11]
	v_add_f64 v[8:9], v[4:5], v[8:9]
	v_add_f64 v[4:5], v[40:41], v[42:43]
	;; [unrolled: 1-line block ×3, first 2 shown]
	v_fmac_f64_e32 v[88:89], s[16:17], v[64:65]
	v_fmac_f64_e32 v[90:91], s[16:17], v[36:37]
	;; [unrolled: 1-line block ×4, first 2 shown]
	v_fma_f64 v[36:37], -0.5, v[0:1], v[16:17]
	v_fmac_f64_e32 v[62:63], s[24:25], v[64:65]
	v_fma_f64 v[64:65], -0.5, v[4:5], v[16:17]
	v_add_f64 v[16:17], v[16:17], v[40:41]
	v_fma_f64 v[54:55], -0.5, v[70:71], v[18:19]
	v_add_f64 v[18:19], v[18:19], v[26:27]
	v_add_f64 v[16:17], v[16:17], v[44:45]
	v_add_f64 v[14:15], v[40:41], -v[42:43]
	v_fmac_f64_e32 v[98:99], s[16:17], v[60:61]
	v_add_f64 v[18:19], v[18:19], v[34:35]
	v_add_f64 v[16:17], v[16:17], v[46:47]
	v_add_f64 v[22:23], v[44:45], -v[46:47]
	v_fma_f64 v[58:59], s[4:5], v[14:15], v[86:87]
	v_fmac_f64_e32 v[98:99], s[12:13], v[96:97]
	v_fmac_f64_e32 v[86:87], s[14:15], v[14:15]
	v_add_f64 v[18:19], v[18:19], v[92:93]
	v_add_f64 v[26:27], v[26:27], -v[78:79]
	v_add_f64 v[40:41], v[16:17], v[42:43]
	v_add_f64 v[16:17], v[68:69], v[48:49]
	v_fma_f64 v[70:71], s[14:15], v[22:23], v[54:55]
	v_fmac_f64_e32 v[58:59], s[10:11], v[22:23]
	v_fmac_f64_e32 v[90:91], s[12:13], v[72:73]
	v_fmac_f64_e32 v[100:101], s[10:11], v[60:61]
	v_fmac_f64_e32 v[54:55], s[4:5], v[22:23]
	v_fmac_f64_e32 v[74:75], s[12:13], v[72:73]
	v_mul_f64 v[72:73], v[98:99], s[12:13]
	v_fmac_f64_e32 v[86:87], s[16:17], v[22:23]
	v_fmac_f64_e32 v[28:29], s[10:11], v[30:31]
	;; [unrolled: 1-line block ×3, first 2 shown]
	v_add_f64 v[32:33], v[18:19], v[78:79]
	v_add_f64 v[22:23], v[34:35], -v[92:93]
	v_fma_f64 v[60:61], s[14:15], v[26:27], v[36:37]
	v_mul_f64 v[78:79], v[98:99], s[4:5]
	v_fmac_f64_e32 v[36:37], s[4:5], v[26:27]
	v_add_f64 v[16:17], v[16:17], v[50:51]
	v_fmac_f64_e32 v[100:101], s[12:13], v[96:97]
	v_fmac_f64_e32 v[72:73], s[14:15], v[74:75]
	;; [unrolled: 1-line block ×3, first 2 shown]
	v_fma_f64 v[66:67], s[4:5], v[22:23], v[64:65]
	v_fmac_f64_e32 v[64:65], s[14:15], v[22:23]
	v_fmac_f64_e32 v[78:79], s[12:13], v[74:75]
	;; [unrolled: 1-line block ×3, first 2 shown]
	v_mul_f64 v[74:75], v[38:39], s[10:11]
	v_add_f64 v[16:17], v[16:17], v[56:57]
	v_fmac_f64_e32 v[70:71], s[10:11], v[14:15]
	v_fmac_f64_e32 v[58:59], s[12:13], v[76:77]
	v_mul_f64 v[102:103], v[100:101], s[20:21]
	v_fmac_f64_e32 v[54:55], s[16:17], v[14:15]
	v_fmac_f64_e32 v[86:87], s[12:13], v[76:77]
	v_mul_f64 v[24:25], v[38:39], s[18:19]
	v_fmac_f64_e32 v[60:61], s[16:17], v[22:23]
	v_fmac_f64_e32 v[66:67], s[16:17], v[26:27]
	v_mul_f64 v[76:77], v[100:101], s[4:5]
	v_fmac_f64_e32 v[64:65], s[10:11], v[26:27]
	v_fmac_f64_e32 v[36:37], s[12:13], v[12:13]
	;; [unrolled: 1-line block ×3, first 2 shown]
	v_add_f64 v[42:43], v[16:17], v[52:53]
	v_fmac_f64_e32 v[70:71], s[12:13], v[10:11]
	v_fmac_f64_e32 v[102:103], s[14:15], v[90:91]
	;; [unrolled: 1-line block ×4, first 2 shown]
	v_add_f64 v[18:19], v[32:33], -v[20:21]
	v_fmac_f64_e32 v[60:61], s[12:13], v[12:13]
	v_fmac_f64_e32 v[66:67], s[12:13], v[8:9]
	;; [unrolled: 1-line block ×4, first 2 shown]
	v_add_f64 v[12:13], v[36:37], -v[74:75]
	v_add_f64 v[38:39], v[32:33], v[20:21]
	v_add_f64 v[32:33], v[36:37], v[74:75]
	;; [unrolled: 1-line block ×3, first 2 shown]
	v_add_f64 v[2:3], v[58:59], -v[88:89]
	v_add_f64 v[6:7], v[70:71], -v[102:103]
	;; [unrolled: 1-line block ×8, first 2 shown]
	v_add_f64 v[22:23], v[58:59], v[88:89]
	v_add_f64 v[26:27], v[70:71], v[102:103]
	;; [unrolled: 1-line block ×7, first 2 shown]
	ds_write_b128 v85, v[36:39] offset:1600
	ds_write_b128 v85, v[32:35] offset:4160
	;; [unrolled: 1-line block ×10, first 2 shown]
.LBB0_25:
	s_or_b64 exec, exec, s[22:23]
	s_waitcnt lgkmcnt(0)
	s_barrier
	s_and_saveexec_b64 s[4:5], s[0:1]
	s_cbranch_execz .LBB0_27
; %bb.26:
	v_mul_lo_u32 v0, s3, v82
	v_mul_lo_u32 v1, s2, v83
	v_mad_u64_u32 v[4:5], s[0:1], s2, v82, 0
	v_lshl_add_u32 v12, v84, 4, v94
	v_add3_u32 v5, v5, v1, v0
	ds_read_b128 v[0:3], v12
	v_lshl_add_u64 v[4:5], v[4:5], 4, s[6:7]
	v_lshl_add_u64 v[8:9], v[80:81], 4, v[4:5]
	ds_read_b128 v[4:7], v12 offset:1600
	v_mov_b32_e32 v85, 0
	v_lshl_add_u64 v[10:11], v[84:85], 4, v[8:9]
	s_waitcnt lgkmcnt(1)
	global_store_dwordx4 v[10:11], v[0:3], off
	s_nop 1
	v_add_u32_e32 v0, 0x64, v84
	v_mov_b32_e32 v1, v85
	v_lshl_add_u64 v[0:1], v[0:1], 4, v[8:9]
	s_waitcnt lgkmcnt(0)
	global_store_dwordx4 v[0:1], v[4:7], off
	ds_read_b128 v[0:3], v12 offset:3200
	s_nop 0
	v_add_u32_e32 v4, 0xc8, v84
	v_mov_b32_e32 v5, v85
	v_lshl_add_u64 v[10:11], v[4:5], 4, v[8:9]
	ds_read_b128 v[4:7], v12 offset:4800
	s_waitcnt lgkmcnt(1)
	global_store_dwordx4 v[10:11], v[0:3], off
	s_nop 1
	v_add_u32_e32 v0, 0x12c, v84
	v_mov_b32_e32 v1, v85
	v_lshl_add_u64 v[0:1], v[0:1], 4, v[8:9]
	s_waitcnt lgkmcnt(0)
	global_store_dwordx4 v[0:1], v[4:7], off
	ds_read_b128 v[0:3], v12 offset:6400
	s_nop 0
	v_add_u32_e32 v4, 0x190, v84
	v_mov_b32_e32 v5, v85
	v_lshl_add_u64 v[10:11], v[4:5], 4, v[8:9]
	ds_read_b128 v[4:7], v12 offset:8000
	s_waitcnt lgkmcnt(1)
	global_store_dwordx4 v[10:11], v[0:3], off
	s_nop 1
	v_add_u32_e32 v0, 0x1f4, v84
	v_mov_b32_e32 v1, v85
	v_lshl_add_u64 v[0:1], v[0:1], 4, v[8:9]
	s_waitcnt lgkmcnt(0)
	global_store_dwordx4 v[0:1], v[4:7], off
	ds_read_b128 v[0:3], v12 offset:9600
	s_nop 0
	v_add_u32_e32 v4, 0x258, v84
	v_mov_b32_e32 v5, v85
	v_lshl_add_u64 v[10:11], v[4:5], 4, v[8:9]
	ds_read_b128 v[4:7], v12 offset:11200
	s_waitcnt lgkmcnt(1)
	global_store_dwordx4 v[10:11], v[0:3], off
	s_nop 1
	v_add_u32_e32 v0, 0x2bc, v84
	v_mov_b32_e32 v1, v85
	v_lshl_add_u64 v[0:1], v[0:1], 4, v[8:9]
	s_waitcnt lgkmcnt(0)
	global_store_dwordx4 v[0:1], v[4:7], off
	ds_read_b128 v[0:3], v12 offset:12800
	s_nop 0
	v_add_u32_e32 v4, 0x320, v84
	v_mov_b32_e32 v5, v85
	v_lshl_add_u64 v[10:11], v[4:5], 4, v[8:9]
	ds_read_b128 v[4:7], v12 offset:14400
	s_waitcnt lgkmcnt(1)
	global_store_dwordx4 v[10:11], v[0:3], off
	s_nop 1
	v_add_u32_e32 v0, 0x384, v84
	v_mov_b32_e32 v1, v85
	v_lshl_add_u64 v[0:1], v[0:1], 4, v[8:9]
	s_waitcnt lgkmcnt(0)
	global_store_dwordx4 v[0:1], v[4:7], off
	ds_read_b128 v[0:3], v12 offset:16000
	s_nop 0
	v_add_u32_e32 v4, 0x3e8, v84
	v_mov_b32_e32 v5, v85
	v_lshl_add_u64 v[10:11], v[4:5], 4, v[8:9]
	ds_read_b128 v[4:7], v12 offset:17600
	s_waitcnt lgkmcnt(1)
	global_store_dwordx4 v[10:11], v[0:3], off
	s_nop 1
	v_add_u32_e32 v0, 0x44c, v84
	v_mov_b32_e32 v1, v85
	v_lshl_add_u64 v[0:1], v[0:1], 4, v[8:9]
	s_waitcnt lgkmcnt(0)
	global_store_dwordx4 v[0:1], v[4:7], off
	ds_read_b128 v[0:3], v12 offset:19200
	s_nop 0
	v_add_u32_e32 v4, 0x4b0, v84
	v_mov_b32_e32 v5, v85
	v_lshl_add_u64 v[10:11], v[4:5], 4, v[8:9]
	ds_read_b128 v[4:7], v12 offset:20800
	s_waitcnt lgkmcnt(1)
	global_store_dwordx4 v[10:11], v[0:3], off
	v_add_u32_e32 v10, 0x578, v84
	v_mov_b32_e32 v11, v85
	v_add_u32_e32 v0, 0x514, v84
	v_mov_b32_e32 v1, v85
	v_lshl_add_u64 v[0:1], v[0:1], 4, v[8:9]
	s_waitcnt lgkmcnt(0)
	global_store_dwordx4 v[0:1], v[4:7], off
	ds_read_b128 v[0:3], v12 offset:22400
	ds_read_b128 v[4:7], v12 offset:24000
	v_lshl_add_u64 v[10:11], v[10:11], 4, v[8:9]
	v_add_u32_e32 v84, 0x5dc, v84
	s_waitcnt lgkmcnt(1)
	global_store_dwordx4 v[10:11], v[0:3], off
	s_nop 1
	v_lshl_add_u64 v[0:1], v[84:85], 4, v[8:9]
	s_waitcnt lgkmcnt(0)
	global_store_dwordx4 v[0:1], v[4:7], off
.LBB0_27:
	s_endpgm
	.section	.rodata,"a",@progbits
	.p2align	6, 0x0
	.amdhsa_kernel fft_rtc_back_len1600_factors_10_16_10_wgs_200_tpt_100_halfLds_dp_op_CI_CI_unitstride_sbrr_C2R_dirReg
		.amdhsa_group_segment_fixed_size 0
		.amdhsa_private_segment_fixed_size 0
		.amdhsa_kernarg_size 104
		.amdhsa_user_sgpr_count 2
		.amdhsa_user_sgpr_dispatch_ptr 0
		.amdhsa_user_sgpr_queue_ptr 0
		.amdhsa_user_sgpr_kernarg_segment_ptr 1
		.amdhsa_user_sgpr_dispatch_id 0
		.amdhsa_user_sgpr_kernarg_preload_length 0
		.amdhsa_user_sgpr_kernarg_preload_offset 0
		.amdhsa_user_sgpr_private_segment_size 0
		.amdhsa_uses_dynamic_stack 0
		.amdhsa_enable_private_segment 0
		.amdhsa_system_sgpr_workgroup_id_x 1
		.amdhsa_system_sgpr_workgroup_id_y 0
		.amdhsa_system_sgpr_workgroup_id_z 0
		.amdhsa_system_sgpr_workgroup_info 0
		.amdhsa_system_vgpr_workitem_id 0
		.amdhsa_next_free_vgpr 144
		.amdhsa_next_free_sgpr 28
		.amdhsa_accum_offset 144
		.amdhsa_reserve_vcc 1
		.amdhsa_float_round_mode_32 0
		.amdhsa_float_round_mode_16_64 0
		.amdhsa_float_denorm_mode_32 3
		.amdhsa_float_denorm_mode_16_64 3
		.amdhsa_dx10_clamp 1
		.amdhsa_ieee_mode 1
		.amdhsa_fp16_overflow 0
		.amdhsa_tg_split 0
		.amdhsa_exception_fp_ieee_invalid_op 0
		.amdhsa_exception_fp_denorm_src 0
		.amdhsa_exception_fp_ieee_div_zero 0
		.amdhsa_exception_fp_ieee_overflow 0
		.amdhsa_exception_fp_ieee_underflow 0
		.amdhsa_exception_fp_ieee_inexact 0
		.amdhsa_exception_int_div_zero 0
	.end_amdhsa_kernel
	.text
.Lfunc_end0:
	.size	fft_rtc_back_len1600_factors_10_16_10_wgs_200_tpt_100_halfLds_dp_op_CI_CI_unitstride_sbrr_C2R_dirReg, .Lfunc_end0-fft_rtc_back_len1600_factors_10_16_10_wgs_200_tpt_100_halfLds_dp_op_CI_CI_unitstride_sbrr_C2R_dirReg
                                        ; -- End function
	.section	.AMDGPU.csdata,"",@progbits
; Kernel info:
; codeLenInByte = 11652
; NumSgprs: 34
; NumVgprs: 144
; NumAgprs: 0
; TotalNumVgprs: 144
; ScratchSize: 0
; MemoryBound: 0
; FloatMode: 240
; IeeeMode: 1
; LDSByteSize: 0 bytes/workgroup (compile time only)
; SGPRBlocks: 4
; VGPRBlocks: 17
; NumSGPRsForWavesPerEU: 34
; NumVGPRsForWavesPerEU: 144
; AccumOffset: 144
; Occupancy: 3
; WaveLimiterHint : 1
; COMPUTE_PGM_RSRC2:SCRATCH_EN: 0
; COMPUTE_PGM_RSRC2:USER_SGPR: 2
; COMPUTE_PGM_RSRC2:TRAP_HANDLER: 0
; COMPUTE_PGM_RSRC2:TGID_X_EN: 1
; COMPUTE_PGM_RSRC2:TGID_Y_EN: 0
; COMPUTE_PGM_RSRC2:TGID_Z_EN: 0
; COMPUTE_PGM_RSRC2:TIDIG_COMP_CNT: 0
; COMPUTE_PGM_RSRC3_GFX90A:ACCUM_OFFSET: 35
; COMPUTE_PGM_RSRC3_GFX90A:TG_SPLIT: 0
	.text
	.p2alignl 6, 3212836864
	.fill 256, 4, 3212836864
	.type	__hip_cuid_995646721c8a80a6,@object ; @__hip_cuid_995646721c8a80a6
	.section	.bss,"aw",@nobits
	.globl	__hip_cuid_995646721c8a80a6
__hip_cuid_995646721c8a80a6:
	.byte	0                               ; 0x0
	.size	__hip_cuid_995646721c8a80a6, 1

	.ident	"AMD clang version 19.0.0git (https://github.com/RadeonOpenCompute/llvm-project roc-6.4.0 25133 c7fe45cf4b819c5991fe208aaa96edf142730f1d)"
	.section	".note.GNU-stack","",@progbits
	.addrsig
	.addrsig_sym __hip_cuid_995646721c8a80a6
	.amdgpu_metadata
---
amdhsa.kernels:
  - .agpr_count:     0
    .args:
      - .actual_access:  read_only
        .address_space:  global
        .offset:         0
        .size:           8
        .value_kind:     global_buffer
      - .offset:         8
        .size:           8
        .value_kind:     by_value
      - .actual_access:  read_only
        .address_space:  global
        .offset:         16
        .size:           8
        .value_kind:     global_buffer
      - .actual_access:  read_only
        .address_space:  global
        .offset:         24
        .size:           8
        .value_kind:     global_buffer
      - .actual_access:  read_only
        .address_space:  global
        .offset:         32
        .size:           8
        .value_kind:     global_buffer
      - .offset:         40
        .size:           8
        .value_kind:     by_value
      - .actual_access:  read_only
        .address_space:  global
        .offset:         48
        .size:           8
        .value_kind:     global_buffer
      - .actual_access:  read_only
        .address_space:  global
        .offset:         56
        .size:           8
        .value_kind:     global_buffer
      - .offset:         64
        .size:           4
        .value_kind:     by_value
      - .actual_access:  read_only
        .address_space:  global
        .offset:         72
        .size:           8
        .value_kind:     global_buffer
      - .actual_access:  read_only
        .address_space:  global
        .offset:         80
        .size:           8
        .value_kind:     global_buffer
      - .actual_access:  read_only
        .address_space:  global
        .offset:         88
        .size:           8
        .value_kind:     global_buffer
      - .actual_access:  write_only
        .address_space:  global
        .offset:         96
        .size:           8
        .value_kind:     global_buffer
    .group_segment_fixed_size: 0
    .kernarg_segment_align: 8
    .kernarg_segment_size: 104
    .language:       OpenCL C
    .language_version:
      - 2
      - 0
    .max_flat_workgroup_size: 200
    .name:           fft_rtc_back_len1600_factors_10_16_10_wgs_200_tpt_100_halfLds_dp_op_CI_CI_unitstride_sbrr_C2R_dirReg
    .private_segment_fixed_size: 0
    .sgpr_count:     34
    .sgpr_spill_count: 0
    .symbol:         fft_rtc_back_len1600_factors_10_16_10_wgs_200_tpt_100_halfLds_dp_op_CI_CI_unitstride_sbrr_C2R_dirReg.kd
    .uniform_work_group_size: 1
    .uses_dynamic_stack: false
    .vgpr_count:     144
    .vgpr_spill_count: 0
    .wavefront_size: 64
amdhsa.target:   amdgcn-amd-amdhsa--gfx950
amdhsa.version:
  - 1
  - 2
...

	.end_amdgpu_metadata
